;; amdgpu-corpus repo=ROCm/rocFFT kind=compiled arch=gfx1030 opt=O3
	.text
	.amdgcn_target "amdgcn-amd-amdhsa--gfx1030"
	.amdhsa_code_object_version 6
	.protected	fft_rtc_fwd_len2250_factors_10_3_5_3_5_wgs_90_tpt_90_halfLds_sp_ip_CI_unitstride_sbrr_C2R_dirReg ; -- Begin function fft_rtc_fwd_len2250_factors_10_3_5_3_5_wgs_90_tpt_90_halfLds_sp_ip_CI_unitstride_sbrr_C2R_dirReg
	.globl	fft_rtc_fwd_len2250_factors_10_3_5_3_5_wgs_90_tpt_90_halfLds_sp_ip_CI_unitstride_sbrr_C2R_dirReg
	.p2align	8
	.type	fft_rtc_fwd_len2250_factors_10_3_5_3_5_wgs_90_tpt_90_halfLds_sp_ip_CI_unitstride_sbrr_C2R_dirReg,@function
fft_rtc_fwd_len2250_factors_10_3_5_3_5_wgs_90_tpt_90_halfLds_sp_ip_CI_unitstride_sbrr_C2R_dirReg: ; @fft_rtc_fwd_len2250_factors_10_3_5_3_5_wgs_90_tpt_90_halfLds_sp_ip_CI_unitstride_sbrr_C2R_dirReg
; %bb.0:
	s_clause 0x2
	s_load_dwordx4 s[8:11], s[4:5], 0x0
	s_load_dwordx2 s[2:3], s[4:5], 0x50
	s_load_dwordx2 s[12:13], s[4:5], 0x18
	v_mul_u32_u24_e32 v1, 0x2d9, v0
	v_mov_b32_e32 v3, 0
	v_add_nc_u32_sdwa v5, s6, v1 dst_sel:DWORD dst_unused:UNUSED_PAD src0_sel:DWORD src1_sel:WORD_1
	v_mov_b32_e32 v1, 0
	v_mov_b32_e32 v6, v3
	v_mov_b32_e32 v2, 0
	s_waitcnt lgkmcnt(0)
	v_cmp_lt_u64_e64 s0, s[10:11], 2
	s_and_b32 vcc_lo, exec_lo, s0
	s_cbranch_vccnz .LBB0_8
; %bb.1:
	s_load_dwordx2 s[0:1], s[4:5], 0x10
	v_mov_b32_e32 v1, 0
	s_add_u32 s6, s12, 8
	v_mov_b32_e32 v2, 0
	s_addc_u32 s7, s13, 0
	s_mov_b64 s[16:17], 1
	s_waitcnt lgkmcnt(0)
	s_add_u32 s14, s0, 8
	s_addc_u32 s15, s1, 0
.LBB0_2:                                ; =>This Inner Loop Header: Depth=1
	s_load_dwordx2 s[18:19], s[14:15], 0x0
                                        ; implicit-def: $vgpr7_vgpr8
	s_mov_b32 s0, exec_lo
	s_waitcnt lgkmcnt(0)
	v_or_b32_e32 v4, s19, v6
	v_cmpx_ne_u64_e32 0, v[3:4]
	s_xor_b32 s1, exec_lo, s0
	s_cbranch_execz .LBB0_4
; %bb.3:                                ;   in Loop: Header=BB0_2 Depth=1
	v_cvt_f32_u32_e32 v4, s18
	v_cvt_f32_u32_e32 v7, s19
	s_sub_u32 s0, 0, s18
	s_subb_u32 s20, 0, s19
	v_fmac_f32_e32 v4, 0x4f800000, v7
	v_rcp_f32_e32 v4, v4
	v_mul_f32_e32 v4, 0x5f7ffffc, v4
	v_mul_f32_e32 v7, 0x2f800000, v4
	v_trunc_f32_e32 v7, v7
	v_fmac_f32_e32 v4, 0xcf800000, v7
	v_cvt_u32_f32_e32 v7, v7
	v_cvt_u32_f32_e32 v4, v4
	v_mul_lo_u32 v8, s0, v7
	v_mul_hi_u32 v9, s0, v4
	v_mul_lo_u32 v10, s20, v4
	v_add_nc_u32_e32 v8, v9, v8
	v_mul_lo_u32 v9, s0, v4
	v_add_nc_u32_e32 v8, v8, v10
	v_mul_hi_u32 v10, v4, v9
	v_mul_lo_u32 v11, v4, v8
	v_mul_hi_u32 v12, v4, v8
	v_mul_hi_u32 v13, v7, v9
	v_mul_lo_u32 v9, v7, v9
	v_mul_hi_u32 v14, v7, v8
	v_mul_lo_u32 v8, v7, v8
	v_add_co_u32 v10, vcc_lo, v10, v11
	v_add_co_ci_u32_e32 v11, vcc_lo, 0, v12, vcc_lo
	v_add_co_u32 v9, vcc_lo, v10, v9
	v_add_co_ci_u32_e32 v9, vcc_lo, v11, v13, vcc_lo
	v_add_co_ci_u32_e32 v10, vcc_lo, 0, v14, vcc_lo
	v_add_co_u32 v8, vcc_lo, v9, v8
	v_add_co_ci_u32_e32 v9, vcc_lo, 0, v10, vcc_lo
	v_add_co_u32 v4, vcc_lo, v4, v8
	v_add_co_ci_u32_e32 v7, vcc_lo, v7, v9, vcc_lo
	v_mul_hi_u32 v8, s0, v4
	v_mul_lo_u32 v10, s20, v4
	v_mul_lo_u32 v9, s0, v7
	v_add_nc_u32_e32 v8, v8, v9
	v_mul_lo_u32 v9, s0, v4
	v_add_nc_u32_e32 v8, v8, v10
	v_mul_hi_u32 v10, v4, v9
	v_mul_lo_u32 v11, v4, v8
	v_mul_hi_u32 v12, v4, v8
	v_mul_hi_u32 v13, v7, v9
	v_mul_lo_u32 v9, v7, v9
	v_mul_hi_u32 v14, v7, v8
	v_mul_lo_u32 v8, v7, v8
	v_add_co_u32 v10, vcc_lo, v10, v11
	v_add_co_ci_u32_e32 v11, vcc_lo, 0, v12, vcc_lo
	v_add_co_u32 v9, vcc_lo, v10, v9
	v_add_co_ci_u32_e32 v9, vcc_lo, v11, v13, vcc_lo
	v_add_co_ci_u32_e32 v10, vcc_lo, 0, v14, vcc_lo
	v_add_co_u32 v8, vcc_lo, v9, v8
	v_add_co_ci_u32_e32 v9, vcc_lo, 0, v10, vcc_lo
	v_add_co_u32 v4, vcc_lo, v4, v8
	v_add_co_ci_u32_e32 v11, vcc_lo, v7, v9, vcc_lo
	v_mul_hi_u32 v13, v5, v4
	v_mad_u64_u32 v[9:10], null, v6, v4, 0
	v_mad_u64_u32 v[7:8], null, v5, v11, 0
	;; [unrolled: 1-line block ×3, first 2 shown]
	v_add_co_u32 v4, vcc_lo, v13, v7
	v_add_co_ci_u32_e32 v7, vcc_lo, 0, v8, vcc_lo
	v_add_co_u32 v4, vcc_lo, v4, v9
	v_add_co_ci_u32_e32 v4, vcc_lo, v7, v10, vcc_lo
	v_add_co_ci_u32_e32 v7, vcc_lo, 0, v12, vcc_lo
	v_add_co_u32 v4, vcc_lo, v4, v11
	v_add_co_ci_u32_e32 v9, vcc_lo, 0, v7, vcc_lo
	v_mul_lo_u32 v10, s19, v4
	v_mad_u64_u32 v[7:8], null, s18, v4, 0
	v_mul_lo_u32 v11, s18, v9
	v_sub_co_u32 v7, vcc_lo, v5, v7
	v_add3_u32 v8, v8, v11, v10
	v_sub_nc_u32_e32 v10, v6, v8
	v_subrev_co_ci_u32_e64 v10, s0, s19, v10, vcc_lo
	v_add_co_u32 v11, s0, v4, 2
	v_add_co_ci_u32_e64 v12, s0, 0, v9, s0
	v_sub_co_u32 v13, s0, v7, s18
	v_sub_co_ci_u32_e32 v8, vcc_lo, v6, v8, vcc_lo
	v_subrev_co_ci_u32_e64 v10, s0, 0, v10, s0
	v_cmp_le_u32_e32 vcc_lo, s18, v13
	v_cmp_eq_u32_e64 s0, s19, v8
	v_cndmask_b32_e64 v13, 0, -1, vcc_lo
	v_cmp_le_u32_e32 vcc_lo, s19, v10
	v_cndmask_b32_e64 v14, 0, -1, vcc_lo
	v_cmp_le_u32_e32 vcc_lo, s18, v7
	;; [unrolled: 2-line block ×3, first 2 shown]
	v_cndmask_b32_e64 v15, 0, -1, vcc_lo
	v_cmp_eq_u32_e32 vcc_lo, s19, v10
	v_cndmask_b32_e64 v7, v15, v7, s0
	v_cndmask_b32_e32 v10, v14, v13, vcc_lo
	v_add_co_u32 v13, vcc_lo, v4, 1
	v_add_co_ci_u32_e32 v14, vcc_lo, 0, v9, vcc_lo
	v_cmp_ne_u32_e32 vcc_lo, 0, v10
	v_cndmask_b32_e32 v8, v14, v12, vcc_lo
	v_cndmask_b32_e32 v10, v13, v11, vcc_lo
	v_cmp_ne_u32_e32 vcc_lo, 0, v7
	v_cndmask_b32_e32 v8, v9, v8, vcc_lo
	v_cndmask_b32_e32 v7, v4, v10, vcc_lo
.LBB0_4:                                ;   in Loop: Header=BB0_2 Depth=1
	s_andn2_saveexec_b32 s0, s1
	s_cbranch_execz .LBB0_6
; %bb.5:                                ;   in Loop: Header=BB0_2 Depth=1
	v_cvt_f32_u32_e32 v4, s18
	s_sub_i32 s1, 0, s18
	v_rcp_iflag_f32_e32 v4, v4
	v_mul_f32_e32 v4, 0x4f7ffffe, v4
	v_cvt_u32_f32_e32 v4, v4
	v_mul_lo_u32 v7, s1, v4
	v_mul_hi_u32 v7, v4, v7
	v_add_nc_u32_e32 v4, v4, v7
	v_mul_hi_u32 v4, v5, v4
	v_mul_lo_u32 v7, v4, s18
	v_add_nc_u32_e32 v8, 1, v4
	v_sub_nc_u32_e32 v7, v5, v7
	v_subrev_nc_u32_e32 v9, s18, v7
	v_cmp_le_u32_e32 vcc_lo, s18, v7
	v_cndmask_b32_e32 v7, v7, v9, vcc_lo
	v_cndmask_b32_e32 v4, v4, v8, vcc_lo
	v_cmp_le_u32_e32 vcc_lo, s18, v7
	v_add_nc_u32_e32 v8, 1, v4
	v_cndmask_b32_e32 v7, v4, v8, vcc_lo
	v_mov_b32_e32 v8, v3
.LBB0_6:                                ;   in Loop: Header=BB0_2 Depth=1
	s_or_b32 exec_lo, exec_lo, s0
	s_load_dwordx2 s[0:1], s[6:7], 0x0
	v_mul_lo_u32 v4, v8, s18
	v_mul_lo_u32 v11, v7, s19
	v_mad_u64_u32 v[9:10], null, v7, s18, 0
	s_add_u32 s16, s16, 1
	s_addc_u32 s17, s17, 0
	s_add_u32 s6, s6, 8
	s_addc_u32 s7, s7, 0
	;; [unrolled: 2-line block ×3, first 2 shown]
	v_add3_u32 v4, v10, v11, v4
	v_sub_co_u32 v5, vcc_lo, v5, v9
	v_sub_co_ci_u32_e32 v4, vcc_lo, v6, v4, vcc_lo
	s_waitcnt lgkmcnt(0)
	v_mul_lo_u32 v6, s1, v5
	v_mul_lo_u32 v4, s0, v4
	v_mad_u64_u32 v[1:2], null, s0, v5, v[1:2]
	v_cmp_ge_u64_e64 s0, s[16:17], s[10:11]
	s_and_b32 vcc_lo, exec_lo, s0
	v_add3_u32 v2, v6, v2, v4
	s_cbranch_vccnz .LBB0_9
; %bb.7:                                ;   in Loop: Header=BB0_2 Depth=1
	v_mov_b32_e32 v5, v7
	v_mov_b32_e32 v6, v8
	s_branch .LBB0_2
.LBB0_8:
	v_mov_b32_e32 v8, v6
	v_mov_b32_e32 v7, v5
.LBB0_9:
	s_lshl_b64 s[0:1], s[10:11], 3
	v_mul_hi_u32 v5, 0x2d82d83, v0
	s_add_u32 s0, s12, s0
	s_addc_u32 s1, s13, s1
	s_load_dwordx2 s[0:1], s[0:1], 0x0
	s_load_dwordx2 s[4:5], s[4:5], 0x20
	s_waitcnt lgkmcnt(0)
	v_mul_lo_u32 v3, s0, v8
	v_mul_lo_u32 v4, s1, v7
	v_mad_u64_u32 v[1:2], null, s0, v7, v[1:2]
	v_cmp_gt_u64_e32 vcc_lo, s[4:5], v[7:8]
	v_add3_u32 v2, v4, v2, v3
	v_mul_u32_u24_e32 v3, 0x5a, v5
	v_lshlrev_b64 v[62:63], 3, v[1:2]
	v_sub_nc_u32_e32 v60, v0, v3
	s_and_saveexec_b32 s1, vcc_lo
	s_cbranch_execz .LBB0_13
; %bb.10:
	v_mov_b32_e32 v61, 0
	v_add_co_u32 v0, s0, s2, v62
	v_add_co_ci_u32_e64 v1, s0, s3, v63, s0
	v_lshlrev_b64 v[2:3], 3, v[60:61]
	v_lshl_add_u32 v52, v60, 3, 0
	v_add_nc_u32_e32 v53, 0x400, v52
	v_add_co_u32 v2, s0, v0, v2
	v_add_co_ci_u32_e64 v3, s0, v1, v3, s0
	v_add_nc_u32_e32 v54, 0x800, v52
	v_add_co_u32 v4, s0, 0x800, v2
	v_add_co_ci_u32_e64 v5, s0, 0, v3, s0
	v_add_co_u32 v6, s0, 0x1000, v2
	v_add_co_ci_u32_e64 v7, s0, 0, v3, s0
	v_add_co_u32 v22, s0, 0x1800, v2
	v_add_co_ci_u32_e64 v23, s0, 0, v3, s0
	v_add_co_u32 v24, s0, 0x2000, v2
	v_add_co_ci_u32_e64 v25, s0, 0, v3, s0
	v_add_co_u32 v26, s0, 0x2800, v2
	v_add_co_ci_u32_e64 v27, s0, 0, v3, s0
	v_add_co_u32 v38, s0, 0x3000, v2
	v_add_co_ci_u32_e64 v39, s0, 0, v3, s0
	v_add_co_u32 v40, s0, 0x3800, v2
	v_add_co_ci_u32_e64 v41, s0, 0, v3, s0
	s_clause 0x7
	global_load_dwordx2 v[8:9], v[2:3], off
	global_load_dwordx2 v[10:11], v[2:3], off offset:720
	global_load_dwordx2 v[12:13], v[2:3], off offset:1440
	global_load_dwordx2 v[14:15], v[4:5], off offset:112
	global_load_dwordx2 v[16:17], v[4:5], off offset:832
	global_load_dwordx2 v[4:5], v[4:5], off offset:1552
	global_load_dwordx2 v[18:19], v[6:7], off offset:224
	global_load_dwordx2 v[20:21], v[6:7], off offset:944
	v_add_co_u32 v2, s0, 0x4000, v2
	v_add_co_ci_u32_e64 v3, s0, 0, v3, s0
	s_clause 0x10
	global_load_dwordx2 v[6:7], v[6:7], off offset:1664
	global_load_dwordx2 v[28:29], v[22:23], off offset:336
	;; [unrolled: 1-line block ×17, first 2 shown]
	v_cmp_eq_u32_e64 s0, 0x59, v60
	v_add_nc_u32_e32 v55, 0x1000, v52
	v_add_nc_u32_e32 v56, 0x1400, v52
	;; [unrolled: 1-line block ×9, first 2 shown]
	s_waitcnt vmcnt(23)
	ds_write2_b64 v52, v[8:9], v[10:11] offset1:90
	s_waitcnt vmcnt(21)
	ds_write2_b64 v53, v[12:13], v[14:15] offset0:52 offset1:142
	s_waitcnt vmcnt(19)
	ds_write2_b64 v54, v[16:17], v[4:5] offset0:104 offset1:194
	;; [unrolled: 2-line block ×11, first 2 shown]
	s_waitcnt vmcnt(0)
	ds_write_b64 v52, v[2:3] offset:17280
	s_and_saveexec_b32 s4, s0
	s_cbranch_execz .LBB0_12
; %bb.11:
	v_add_co_u32 v0, s0, 0x4000, v0
	v_add_co_ci_u32_e64 v1, s0, 0, v1, s0
	v_mov_b32_e32 v60, 0x59
	global_load_dwordx2 v[0:1], v[0:1], off offset:1616
	s_waitcnt vmcnt(0)
	ds_write_b64 v61, v[0:1] offset:18000
.LBB0_12:
	s_or_b32 exec_lo, exec_lo, s4
.LBB0_13:
	s_or_b32 exec_lo, exec_lo, s1
	v_lshlrev_b32_e32 v0, 3, v60
	s_waitcnt lgkmcnt(0)
	s_barrier
	buffer_gl0_inv
	s_add_u32 s1, s8, 0x4600
	v_add_nc_u32_e32 v64, 0, v0
	v_sub_nc_u32_e32 v4, 0, v0
	s_addc_u32 s4, s9, 0
	s_mov_b32 s5, exec_lo
                                        ; implicit-def: $vgpr0_vgpr1
	ds_read_b32 v5, v64
	ds_read_b32 v6, v4 offset:18000
	s_waitcnt lgkmcnt(0)
	v_add_f32_e32 v2, v6, v5
	v_sub_f32_e32 v3, v5, v6
	v_cmpx_ne_u32_e32 0, v60
	s_xor_b32 s5, exec_lo, s5
	s_cbranch_execz .LBB0_15
; %bb.14:
	v_mov_b32_e32 v61, 0
	v_add_f32_e32 v7, v6, v5
	v_sub_f32_e32 v8, v5, v6
	v_lshlrev_b64 v[0:1], 3, v[60:61]
	v_add_co_u32 v0, s0, s1, v0
	v_add_co_ci_u32_e64 v1, s0, s4, v1, s0
	global_load_dwordx2 v[0:1], v[0:1], off
	ds_read_b32 v2, v4 offset:18004
	ds_read_b32 v3, v64 offset:4
	s_waitcnt lgkmcnt(0)
	v_add_f32_e32 v9, v2, v3
	v_sub_f32_e32 v2, v3, v2
	s_waitcnt vmcnt(0)
	v_fma_f32 v5, -v8, v1, v7
	v_fma_f32 v6, v9, v1, -v2
	v_fma_f32 v10, v8, v1, v7
	v_fma_f32 v3, v9, v1, v2
	v_fmac_f32_e32 v5, v0, v9
	v_fmac_f32_e32 v6, v8, v0
	v_fma_f32 v2, -v0, v9, v10
	v_fmac_f32_e32 v3, v8, v0
	v_mov_b32_e32 v0, v60
	v_mov_b32_e32 v1, v61
	ds_write_b64 v4, v[5:6] offset:18000
.LBB0_15:
	s_andn2_saveexec_b32 s0, s5
	s_cbranch_execz .LBB0_17
; %bb.16:
	v_mov_b32_e32 v7, 0
	ds_read_b64 v[0:1], v7 offset:9000
	s_waitcnt lgkmcnt(0)
	v_add_f32_e32 v5, v0, v0
	v_mul_f32_e32 v6, -2.0, v1
	v_mov_b32_e32 v0, 0
	v_mov_b32_e32 v1, 0
	ds_write_b64 v7, v[5:6] offset:9000
.LBB0_17:
	s_or_b32 exec_lo, exec_lo, s0
	v_lshlrev_b64 v[0:1], 3, v[0:1]
	v_add_co_u32 v0, s0, s1, v0
	v_add_co_ci_u32_e64 v1, s0, s4, v1, s0
	s_clause 0x1
	global_load_dwordx2 v[5:6], v[0:1], off offset:720
	global_load_dwordx2 v[7:8], v[0:1], off offset:1440
	v_add_co_u32 v9, s0, 0x800, v0
	v_add_co_ci_u32_e64 v10, s0, 0, v1, s0
	s_clause 0x2
	global_load_dwordx2 v[11:12], v[9:10], off offset:112
	global_load_dwordx2 v[13:14], v[9:10], off offset:832
	;; [unrolled: 1-line block ×3, first 2 shown]
	v_add_co_u32 v15, s0, 0x1000, v0
	v_add_co_ci_u32_e64 v16, s0, 0, v1, s0
	s_clause 0x1
	global_load_dwordx2 v[17:18], v[15:16], off offset:224
	global_load_dwordx2 v[19:20], v[15:16], off offset:944
	ds_write_b64 v64, v[2:3]
	ds_read_b64 v[2:3], v64 offset:720
	ds_read_b64 v[21:22], v4 offset:17280
	global_load_dwordx2 v[15:16], v[15:16], off offset:1664
	s_waitcnt lgkmcnt(0)
	v_add_f32_e32 v23, v2, v21
	v_add_f32_e32 v24, v22, v3
	v_sub_f32_e32 v25, v2, v21
	v_sub_f32_e32 v2, v3, v22
	s_waitcnt vmcnt(7)
	v_fma_f32 v26, v25, v6, v23
	v_fma_f32 v3, v24, v6, v2
	v_fma_f32 v21, -v25, v6, v23
	v_fma_f32 v22, v24, v6, -v2
	v_fma_f32 v2, -v5, v24, v26
	v_fmac_f32_e32 v3, v25, v5
	v_fmac_f32_e32 v21, v5, v24
	;; [unrolled: 1-line block ×3, first 2 shown]
	v_add_co_u32 v5, s0, 0x1800, v0
	v_add_co_ci_u32_e64 v6, s0, 0, v1, s0
	ds_write_b64 v64, v[2:3] offset:720
	ds_write_b64 v4, v[21:22] offset:17280
	ds_read_b64 v[2:3], v64 offset:1440
	ds_read_b64 v[21:22], v4 offset:16560
	v_cmp_gt_u32_e64 s0, 45, v60
	global_load_dwordx2 v[23:24], v[5:6], off offset:336
	s_waitcnt lgkmcnt(0)
	v_add_f32_e32 v25, v2, v21
	v_add_f32_e32 v26, v22, v3
	v_sub_f32_e32 v27, v2, v21
	v_sub_f32_e32 v2, v3, v22
	s_waitcnt vmcnt(7)
	v_fma_f32 v28, v27, v8, v25
	v_fma_f32 v3, v26, v8, v2
	v_fma_f32 v21, -v27, v8, v25
	v_fma_f32 v22, v26, v8, -v2
	v_fma_f32 v2, -v7, v26, v28
	v_fmac_f32_e32 v3, v27, v7
	v_fmac_f32_e32 v21, v7, v26
	v_fmac_f32_e32 v22, v27, v7
	ds_write_b64 v64, v[2:3] offset:1440
	ds_write_b64 v4, v[21:22] offset:16560
	ds_read_b64 v[2:3], v64 offset:2160
	ds_read_b64 v[7:8], v4 offset:15840
	global_load_dwordx2 v[21:22], v[5:6], off offset:1056
	s_waitcnt lgkmcnt(0)
	v_add_f32_e32 v25, v2, v7
	v_add_f32_e32 v26, v8, v3
	v_sub_f32_e32 v27, v2, v7
	v_sub_f32_e32 v2, v3, v8
	s_waitcnt vmcnt(7)
	v_fma_f32 v28, v27, v12, v25
	v_fma_f32 v3, v26, v12, v2
	v_fma_f32 v7, -v27, v12, v25
	v_fma_f32 v8, v26, v12, -v2
	v_fma_f32 v2, -v11, v26, v28
	v_fmac_f32_e32 v3, v27, v11
	v_fmac_f32_e32 v7, v11, v26
	v_fmac_f32_e32 v8, v27, v11
	ds_write_b64 v64, v[2:3] offset:2160
	ds_write_b64 v4, v[7:8] offset:15840
	ds_read_b64 v[2:3], v64 offset:2880
	ds_read_b64 v[7:8], v4 offset:15120
	;; [unrolled: 19-line block ×3, first 2 shown]
	s_waitcnt lgkmcnt(0)
	v_add_f32_e32 v11, v2, v7
	v_add_f32_e32 v12, v8, v3
	v_sub_f32_e32 v13, v2, v7
	v_sub_f32_e32 v2, v3, v8
	s_waitcnt vmcnt(6)
	v_fma_f32 v14, v13, v10, v11
	v_fma_f32 v3, v12, v10, v2
	v_fma_f32 v7, -v13, v10, v11
	v_fma_f32 v8, v12, v10, -v2
	v_fma_f32 v2, -v9, v12, v14
	v_fmac_f32_e32 v3, v13, v9
	v_fmac_f32_e32 v7, v9, v12
	v_fmac_f32_e32 v8, v13, v9
	ds_write_b64 v64, v[2:3] offset:3600
	ds_write_b64 v4, v[7:8] offset:14400
	ds_read_b64 v[2:3], v64 offset:4320
	ds_read_b64 v[7:8], v4 offset:13680
	s_waitcnt lgkmcnt(0)
	v_add_f32_e32 v9, v2, v7
	v_add_f32_e32 v10, v8, v3
	v_sub_f32_e32 v11, v2, v7
	v_sub_f32_e32 v2, v3, v8
	s_waitcnt vmcnt(5)
	v_fma_f32 v12, v11, v18, v9
	v_fma_f32 v3, v10, v18, v2
	v_fma_f32 v7, -v11, v18, v9
	v_fma_f32 v8, v10, v18, -v2
	v_fma_f32 v2, -v17, v10, v12
	v_fmac_f32_e32 v3, v11, v17
	v_fmac_f32_e32 v7, v17, v10
	v_fmac_f32_e32 v8, v11, v17
	ds_write_b64 v64, v[2:3] offset:4320
	ds_write_b64 v4, v[7:8] offset:13680
	ds_read_b64 v[2:3], v64 offset:5040
	ds_read_b64 v[7:8], v4 offset:12960
	;; [unrolled: 18-line block ×6, first 2 shown]
	s_waitcnt lgkmcnt(0)
	v_add_f32_e32 v9, v2, v7
	v_add_f32_e32 v10, v8, v3
	v_sub_f32_e32 v11, v2, v7
	v_sub_f32_e32 v2, v3, v8
	s_waitcnt vmcnt(0)
	v_fma_f32 v12, v11, v6, v9
	v_fma_f32 v3, v10, v6, v2
	v_fma_f32 v7, -v11, v6, v9
	v_fma_f32 v8, v10, v6, -v2
	v_fma_f32 v2, -v5, v10, v12
	v_fmac_f32_e32 v3, v11, v5
	v_fmac_f32_e32 v7, v5, v10
	;; [unrolled: 1-line block ×3, first 2 shown]
	ds_write_b64 v64, v[2:3] offset:7920
	ds_write_b64 v4, v[7:8] offset:10080
	s_and_saveexec_b32 s4, s0
	s_cbranch_execz .LBB0_19
; %bb.18:
	v_add_co_u32 v0, s1, 0x2000, v0
	v_add_co_ci_u32_e64 v1, s1, 0, v1, s1
	global_load_dwordx2 v[0:1], v[0:1], off offset:448
	ds_read_b64 v[2:3], v64 offset:8640
	ds_read_b64 v[5:6], v4 offset:9360
	s_waitcnt lgkmcnt(0)
	v_add_f32_e32 v7, v2, v5
	v_add_f32_e32 v8, v6, v3
	v_sub_f32_e32 v9, v2, v5
	v_sub_f32_e32 v3, v3, v6
	s_waitcnt vmcnt(0)
	v_fma_f32 v10, v9, v1, v7
	v_fma_f32 v2, v8, v1, v3
	v_fma_f32 v5, -v9, v1, v7
	v_fma_f32 v6, v8, v1, -v3
	v_fma_f32 v1, -v0, v8, v10
	v_fmac_f32_e32 v2, v9, v0
	v_fmac_f32_e32 v5, v0, v8
	v_fmac_f32_e32 v6, v9, v0
	ds_write_b64 v64, v[1:2] offset:8640
	ds_write_b64 v4, v[5:6] offset:9360
.LBB0_19:
	s_or_b32 exec_lo, exec_lo, s4
	v_add_nc_u32_e32 v66, 0x1400, v64
	v_add_nc_u32_e32 v0, 0x2400, v64
	;; [unrolled: 1-line block ×5, first 2 shown]
	s_waitcnt lgkmcnt(0)
	s_barrier
	buffer_gl0_inv
	s_barrier
	buffer_gl0_inv
	ds_read2_b64 v[4:7], v66 offset0:125 offset1:215
	ds_read2_b64 v[8:11], v0 offset0:63 offset1:153
	;; [unrolled: 1-line block ×5, first 2 shown]
	v_add_nc_u32_e32 v20, 0xc00, v64
	v_add_nc_u32_e32 v69, 0x1800, v64
	;; [unrolled: 1-line block ×4, first 2 shown]
	ds_read2_b64 v[20:23], v20 offset0:66 offset1:156
	ds_read2_b64 v[24:27], v69 offset0:132 offset1:222
	ds_read2_b64 v[48:51], v64 offset1:90
	ds_read2_b64 v[52:55], v61 offset0:70 offset1:160
	ds_read2_b64 v[56:59], v65 offset0:8 offset1:98
	v_add_nc_u32_e32 v71, 0x2000, v64
	v_add_nc_u32_e32 v70, 0x1000, v64
	v_add_nc_u32_e32 v72, 0x2c00, v64
	s_waitcnt lgkmcnt(8)
	v_sub_f32_e32 v29, v4, v8
	s_waitcnt lgkmcnt(7)
	v_add_f32_e32 v28, v8, v12
	s_waitcnt lgkmcnt(6)
	v_sub_f32_e32 v78, v5, v17
	v_add_f32_e32 v30, v9, v13
	v_sub_f32_e32 v79, v9, v13
	v_sub_f32_e32 v81, v4, v16
	s_waitcnt lgkmcnt(5)
	v_fma_f32 v80, -0.5, v28, v0
	v_sub_f32_e32 v28, v16, v12
	v_fma_f32 v83, -0.5, v30, v1
	v_sub_f32_e32 v31, v5, v9
	v_sub_f32_e32 v32, v17, v13
	v_fmamk_f32 v30, v78, 0x3f737871, v80
	v_add_f32_e32 v84, v29, v28
	s_waitcnt lgkmcnt(2)
	v_add_f32_e32 v33, v50, v22
	v_sub_f32_e32 v82, v8, v12
	v_fmamk_f32 v28, v81, 0xbf737871, v83
	v_fmac_f32_e32 v30, 0x3f167918, v79
	v_sub_f32_e32 v29, v22, v26
	v_add_f32_e32 v85, v31, v32
	s_waitcnt lgkmcnt(0)
	v_sub_f32_e32 v31, v58, v54
	v_add_f32_e32 v33, v33, v26
	v_fmac_f32_e32 v30, 0x3e9e377a, v84
	v_fmac_f32_e32 v28, 0xbf167918, v82
	v_sub_f32_e32 v94, v22, v58
	v_add_f32_e32 v88, v29, v31
	v_add_f32_e32 v29, v33, v54
	v_mul_f32_e32 v86, 0x3f4f1bbd, v30
	v_mul_f32_e32 v87, 0xbf167918, v30
	v_add_f32_e32 v30, v26, v54
	v_sub_f32_e32 v98, v26, v54
	v_add_f32_e32 v102, v22, v58
	v_sub_f32_e32 v22, v26, v22
	v_sub_f32_e32 v26, v54, v58
	;; [unrolled: 1-line block ×3, first 2 shown]
	v_fmac_f32_e32 v28, 0x3e9e377a, v85
	v_add_f32_e32 v31, v51, v23
	v_add_f32_e32 v90, v29, v58
	v_sub_f32_e32 v92, v23, v59
	v_add_f32_e32 v58, v23, v59
	v_add_f32_e32 v22, v22, v26
	v_sub_f32_e32 v23, v27, v23
	v_sub_f32_e32 v26, v55, v59
	v_fmac_f32_e32 v86, 0x3f167918, v28
	v_fmac_f32_e32 v87, 0x3f4f1bbd, v28
	v_fma_f32 v91, -0.5, v30, v50
	v_add_f32_e32 v28, v27, v55
	v_add_f32_e32 v29, v31, v27
	;; [unrolled: 1-line block ×3, first 2 shown]
	v_sub_f32_e32 v96, v27, v55
	v_add_f32_e32 v23, v23, v26
	v_add_f32_e32 v26, v5, v17
	;; [unrolled: 1-line block ×4, first 2 shown]
	v_fma_f32 v93, -0.5, v28, v51
	v_add_f32_e32 v28, v30, v8
	v_fma_f32 v50, -0.5, v102, v50
	v_sub_f32_e32 v4, v8, v4
	v_fma_f32 v1, -0.5, v26, v1
	v_sub_f32_e32 v8, v12, v16
	v_fma_f32 v0, -0.5, v27, v0
	v_add_f32_e32 v30, v31, v9
	v_add_f32_e32 v28, v28, v12
	v_fmamk_f32 v54, v96, 0xbf737871, v50
	v_fmac_f32_e32 v50, 0x3f737871, v96
	v_sub_f32_e32 v5, v9, v5
	v_sub_f32_e32 v9, v13, v17
	v_fmamk_f32 v12, v82, 0x3f737871, v1
	v_add_f32_e32 v4, v4, v8
	v_fmamk_f32 v8, v79, 0xbf737871, v0
	v_fmac_f32_e32 v0, 0x3f737871, v79
	v_fmac_f32_e32 v1, 0xbf737871, v82
	v_fmac_f32_e32 v54, 0x3f167918, v92
	v_fmac_f32_e32 v50, 0xbf167918, v92
	v_fmac_f32_e32 v51, -0.5, v58
	v_add_f32_e32 v5, v5, v9
	v_fmac_f32_e32 v12, 0xbf167918, v81
	v_fmac_f32_e32 v8, 0x3f167918, v78
	;; [unrolled: 1-line block ×8, first 2 shown]
	v_fmamk_f32 v22, v98, 0x3f737871, v51
	v_fmac_f32_e32 v51, 0xbf737871, v98
	v_fmac_f32_e32 v12, 0x3e9e377a, v5
	;; [unrolled: 1-line block ×7, first 2 shown]
	v_sub_f32_e32 v34, v59, v55
	v_fmamk_f32 v95, v92, 0x3f737871, v91
	v_fmamk_f32 v97, v94, 0xbf737871, v93
	v_add_f32_e32 v30, v30, v13
	v_add_f32_e32 v99, v28, v16
	v_mul_u32_u24_e32 v28, 10, v60
	v_fmac_f32_e32 v22, 0xbf167918, v94
	v_fmac_f32_e32 v51, 0x3f167918, v94
	v_mul_f32_e32 v13, 0x3f737871, v12
	v_mul_f32_e32 v16, 0xbf737871, v8
	;; [unrolled: 1-line block ×4, first 2 shown]
	v_fmac_f32_e32 v91, 0xbf737871, v92
	v_fmac_f32_e32 v93, 0x3f737871, v94
	;; [unrolled: 1-line block ×4, first 2 shown]
	v_add_f32_e32 v89, v32, v34
	v_add_f32_e32 v29, v29, v55
	v_fmac_f32_e32 v95, 0x3f167918, v96
	v_fmac_f32_e32 v97, 0xbf167918, v98
	v_lshl_add_u32 v73, v28, 3, 0
	v_fmac_f32_e32 v22, 0x3e9e377a, v23
	v_fmac_f32_e32 v51, 0x3e9e377a, v23
	;; [unrolled: 1-line block ×4, first 2 shown]
	v_fma_f32 v23, 0x3f737871, v1, -v4
	v_fma_f32 v26, 0xbf737871, v0, -v5
	v_fmac_f32_e32 v91, 0xbf167918, v96
	v_fmac_f32_e32 v93, 0x3f167918, v98
	v_mul_f32_e32 v8, 0x3f4f1bbd, v80
	v_mul_f32_e32 v9, 0x3f4f1bbd, v83
	v_add_f32_e32 v100, v29, v59
	v_add_f32_e32 v101, v30, v17
	v_fmac_f32_e32 v95, 0x3e9e377a, v88
	v_fmac_f32_e32 v97, 0x3e9e377a, v89
	v_add_f32_e32 v0, v54, v13
	v_add_f32_e32 v1, v22, v16
	;; [unrolled: 1-line block ×4, first 2 shown]
	v_add_nc_u32_e32 v12, 0x1c30, v73
	v_fmac_f32_e32 v91, 0x3e9e377a, v88
	v_fmac_f32_e32 v93, 0x3e9e377a, v89
	v_fma_f32 v17, 0x3f167918, v83, -v8
	v_fma_f32 v27, 0xbf167918, v80, -v9
	ds_read2_b64 v[28:31], v64 offset0:180 offset1:225
	ds_read2_b64 v[32:35], v70 offset0:118 offset1:163
	;; [unrolled: 1-line block ×5, first 2 shown]
	v_add_f32_e32 v74, v90, v99
	v_add_f32_e32 v75, v100, v101
	v_add_f32_e32 v76, v95, v86
	v_add_f32_e32 v77, v97, v87
	s_waitcnt lgkmcnt(0)
	s_barrier
	buffer_gl0_inv
	v_add_nc_u32_e32 v102, 0x1c20, v73
	ds_write2_b64 v12, v[0:1], v[4:5] offset1:1
	v_sub_f32_e32 v0, v90, v99
	v_sub_f32_e32 v1, v100, v101
	v_add_f32_e32 v4, v91, v17
	v_add_f32_e32 v5, v93, v27
	v_add_nc_u32_e32 v55, 0x1c40, v73
	v_sub_f32_e32 v12, v54, v13
	v_sub_f32_e32 v13, v22, v16
	;; [unrolled: 1-line block ×4, first 2 shown]
	v_add_f32_e32 v27, v48, v20
	v_sub_f32_e32 v8, v95, v86
	v_sub_f32_e32 v9, v97, v87
	v_add_nc_u32_e32 v54, 0x1c50, v73
	v_sub_f32_e32 v22, v50, v23
	v_sub_f32_e32 v23, v51, v26
	v_add_nc_u32_e32 v26, 0x1c60, v73
	ds_write2_b64 v102, v[74:75], v[76:77] offset1:1
	v_add_f32_e32 v50, v49, v21
	ds_write2_b64 v55, v[4:5], v[0:1] offset1:1
	ds_write2_b64 v54, v[8:9], v[12:13] offset1:1
	;; [unrolled: 1-line block ×3, first 2 shown]
	v_add_f32_e32 v0, v27, v24
	v_add_f32_e32 v4, v24, v52
	v_sub_f32_e32 v8, v25, v53
	v_add_f32_e32 v1, v50, v25
	v_sub_f32_e32 v5, v20, v24
	;; [unrolled: 2-line block ×3, first 2 shown]
	v_add_f32_e32 v12, v25, v53
	v_add_f32_e32 v1, v1, v53
	v_sub_f32_e32 v13, v24, v52
	v_add_f32_e32 v27, v0, v56
	v_add_f32_e32 v0, v38, v42
	v_sub_f32_e32 v16, v21, v25
	v_sub_f32_e32 v17, v25, v21
	v_add_f32_e32 v23, v20, v56
	v_sub_f32_e32 v24, v56, v52
	v_sub_f32_e32 v25, v52, v56
	v_add_f32_e32 v50, v1, v57
	v_fma_f32 v51, -0.5, v4, v48
	v_sub_f32_e32 v1, v34, v38
	v_sub_f32_e32 v4, v46, v42
	v_add_f32_e32 v52, v39, v43
	v_fma_f32 v54, -0.5, v0, v30
	v_sub_f32_e32 v55, v35, v47
	v_sub_f32_e32 v20, v20, v56
	v_fma_f32 v23, -0.5, v23, v48
	v_add_f32_e32 v48, v1, v4
	v_fma_f32 v52, -0.5, v52, v31
	v_sub_f32_e32 v56, v34, v46
	v_fmamk_f32 v0, v55, 0x3f737871, v54
	v_sub_f32_e32 v58, v39, v43
	v_sub_f32_e32 v1, v35, v39
	;; [unrolled: 1-line block ×4, first 2 shown]
	v_fmamk_f32 v59, v56, 0xbf737871, v52
	v_sub_f32_e32 v74, v38, v42
	v_fmac_f32_e32 v0, 0x3f167918, v58
	v_fma_f32 v12, -0.5, v12, v49
	v_add_f32_e32 v75, v1, v4
	v_add_f32_e32 v1, v30, v34
	;; [unrolled: 1-line block ×3, first 2 shown]
	v_sub_f32_e32 v26, v57, v53
	v_fmac_f32_e32 v59, 0xbf167918, v74
	v_fmac_f32_e32 v0, 0x3e9e377a, v48
	v_add_f32_e32 v1, v1, v38
	v_add_f32_e32 v4, v4, v39
	v_fmamk_f32 v77, v22, 0x3f737871, v51
	v_fmamk_f32 v78, v20, 0xbf737871, v12
	v_add_f32_e32 v24, v5, v24
	v_add_f32_e32 v16, v16, v26
	v_fmac_f32_e32 v59, 0x3e9e377a, v75
	v_mul_f32_e32 v26, 0x3f4f1bbd, v0
	v_mul_f32_e32 v76, 0xbf167918, v0
	v_add_f32_e32 v0, v1, v42
	v_add_f32_e32 v1, v4, v43
	v_fmac_f32_e32 v77, 0x3f167918, v8
	v_fmac_f32_e32 v78, 0xbf167918, v13
	;; [unrolled: 1-line block ×3, first 2 shown]
	v_add_f32_e32 v79, v0, v46
	v_add_f32_e32 v80, v1, v47
	v_fmac_f32_e32 v76, 0x3f4f1bbd, v59
	v_fmac_f32_e32 v77, 0x3e9e377a, v24
	;; [unrolled: 1-line block ×3, first 2 shown]
	v_add_f32_e32 v0, v27, v79
	v_add_f32_e32 v1, v50, v80
	v_fmamk_f32 v59, v8, 0xbf737871, v23
	v_add_f32_e32 v4, v77, v26
	v_add_f32_e32 v5, v78, v76
	v_fmac_f32_e32 v23, 0x3f737871, v8
	v_add_f32_e32 v9, v9, v25
	v_fmac_f32_e32 v59, 0x3f167918, v22
	v_sub_f32_e32 v25, v53, v57
	ds_write2_b64 v73, v[0:1], v[4:5] offset1:1
	v_add_f32_e32 v4, v34, v46
	v_fmac_f32_e32 v23, 0xbf167918, v22
	v_add_f32_e32 v1, v35, v47
	v_fmac_f32_e32 v59, 0x3e9e377a, v9
	v_add_f32_e32 v5, v17, v25
	v_fma_f32 v4, -0.5, v4, v30
	v_fmac_f32_e32 v23, 0x3e9e377a, v9
	v_fma_f32 v1, -0.5, v1, v31
	v_sub_f32_e32 v9, v39, v35
	v_sub_f32_e32 v17, v43, v47
	v_sub_f32_e32 v30, v38, v34
	v_sub_f32_e32 v31, v42, v46
	v_fmamk_f32 v34, v58, 0xbf737871, v4
	v_fmac_f32_e32 v4, 0x3f737871, v58
	v_add_f32_e32 v21, v21, v57
	v_fmamk_f32 v25, v74, 0x3f737871, v1
	v_add_f32_e32 v9, v9, v17
	v_fmac_f32_e32 v1, 0xbf737871, v74
	v_add_f32_e32 v17, v30, v31
	v_fmac_f32_e32 v4, 0xbf167918, v55
	v_fmac_f32_e32 v54, 0xbf737871, v55
	v_fma_f32 v21, -0.5, v21, v49
	v_fmac_f32_e32 v25, 0xbf167918, v56
	v_fmac_f32_e32 v1, 0x3f167918, v56
	;; [unrolled: 1-line block ×5, first 2 shown]
	v_fmamk_f32 v0, v13, 0x3f737871, v21
	v_fmac_f32_e32 v21, 0xbf737871, v13
	v_fmac_f32_e32 v34, 0x3f167918, v55
	;; [unrolled: 1-line block ×4, first 2 shown]
	v_mul_f32_e32 v9, 0x3e9e377a, v4
	v_fmac_f32_e32 v52, 0x3f167918, v74
	v_fmac_f32_e32 v54, 0x3e9e377a, v48
	;; [unrolled: 1-line block ×5, first 2 shown]
	v_mul_f32_e32 v17, 0x3e9e377a, v1
	v_fma_f32 v9, 0x3f737871, v1, -v9
	v_fmac_f32_e32 v51, 0xbf737871, v22
	v_fmac_f32_e32 v52, 0x3e9e377a, v75
	v_mul_f32_e32 v1, 0x3f4f1bbd, v54
	v_fmac_f32_e32 v0, 0x3e9e377a, v5
	v_fmac_f32_e32 v21, 0x3e9e377a, v5
	v_mul_f32_e32 v5, 0xbf737871, v34
	v_fma_f32 v17, 0xbf737871, v4, -v17
	v_fmac_f32_e32 v12, 0x3f737871, v20
	v_fmac_f32_e32 v51, 0xbf167918, v8
	v_mul_f32_e32 v4, 0x3f4f1bbd, v52
	v_fma_f32 v8, 0x3f167918, v52, -v1
	v_add_f32_e32 v1, v36, v40
	v_fmac_f32_e32 v5, 0x3e9e377a, v25
	v_fmac_f32_e32 v12, 0x3f167918, v13
	v_fmac_f32_e32 v51, 0x3e9e377a, v24
	v_fma_f32 v13, 0xbf167918, v54, -v4
	v_fma_f32 v1, -0.5, v1, v28
	v_sub_f32_e32 v4, v33, v45
	v_add_f32_e32 v35, v0, v5
	v_add_f32_e32 v38, v23, v9
	;; [unrolled: 1-line block ×3, first 2 shown]
	v_sub_f32_e32 v57, v0, v5
	v_sub_f32_e32 v58, v23, v9
	;; [unrolled: 1-line block ×3, first 2 shown]
	v_fmamk_f32 v0, v4, 0x3f737871, v1
	v_sub_f32_e32 v5, v37, v41
	v_sub_f32_e32 v8, v32, v36
	;; [unrolled: 1-line block ×3, first 2 shown]
	v_fmac_f32_e32 v1, 0xbf737871, v4
	v_mul_f32_e32 v30, 0x3f737871, v25
	v_fmac_f32_e32 v12, 0x3e9e377a, v16
	v_add_f32_e32 v16, v37, v41
	v_fmac_f32_e32 v0, 0x3f167918, v5
	v_add_f32_e32 v9, v8, v9
	v_fmac_f32_e32 v1, 0xbf167918, v5
	v_fmac_f32_e32 v30, 0x3e9e377a, v34
	v_add_f32_e32 v47, v12, v13
	v_sub_f32_e32 v75, v12, v13
	v_fma_f32 v20, -0.5, v16, v29
	v_sub_f32_e32 v13, v33, v37
	v_sub_f32_e32 v16, v45, v41
	v_fmac_f32_e32 v0, 0x3e9e377a, v9
	v_fmac_f32_e32 v1, 0x3e9e377a, v9
	v_add_f32_e32 v9, v10, v14
	v_add_f32_e32 v34, v59, v30
	;; [unrolled: 1-line block ×3, first 2 shown]
	v_sub_f32_e32 v56, v59, v30
	v_sub_f32_e32 v59, v21, v17
	v_add_f32_e32 v13, v13, v16
	v_sub_f32_e32 v16, v6, v10
	v_sub_f32_e32 v22, v18, v14
	v_add_f32_e32 v23, v11, v15
	v_fma_f32 v24, -0.5, v9, v2
	v_sub_f32_e32 v17, v7, v19
	v_sub_f32_e32 v12, v32, v44
	v_add_f32_e32 v22, v16, v22
	v_fma_f32 v23, -0.5, v23, v3
	v_sub_f32_e32 v16, v6, v18
	v_fmamk_f32 v25, v17, 0x3f737871, v24
	v_sub_f32_e32 v30, v11, v15
	v_sub_f32_e32 v42, v27, v79
	;; [unrolled: 1-line block ×3, first 2 shown]
	v_fmamk_f32 v8, v12, 0xbf737871, v20
	v_sub_f32_e32 v21, v36, v40
	v_fmac_f32_e32 v20, 0x3f737871, v12
	v_sub_f32_e32 v9, v7, v11
	v_sub_f32_e32 v26, v19, v15
	v_fmamk_f32 v48, v16, 0xbf737871, v23
	v_sub_f32_e32 v27, v10, v14
	v_fmac_f32_e32 v25, 0x3f167918, v30
	v_fmac_f32_e32 v24, 0xbf737871, v17
	v_fmac_f32_e32 v23, 0x3f737871, v16
	v_fmac_f32_e32 v8, 0xbf167918, v21
	v_fmac_f32_e32 v20, 0x3f167918, v21
	v_add_f32_e32 v26, v9, v26
	v_fmac_f32_e32 v48, 0xbf167918, v27
	v_fmac_f32_e32 v25, 0x3e9e377a, v22
	;; [unrolled: 1-line block ×6, first 2 shown]
	v_mul_f32_e32 v9, 0x3f4f1bbd, v25
	v_fmac_f32_e32 v24, 0x3e9e377a, v22
	v_fmac_f32_e32 v20, 0x3e9e377a, v13
	;; [unrolled: 1-line block ×3, first 2 shown]
	v_mul_f32_e32 v13, 0xbf167918, v25
	v_add_f32_e32 v25, v28, v32
	v_add_f32_e32 v26, v29, v33
	;; [unrolled: 1-line block ×4, first 2 shown]
	v_mul_f32_e32 v22, 0x3f4f1bbd, v24
	v_add_f32_e32 v25, v25, v36
	v_add_f32_e32 v26, v26, v37
	v_add_f32_e32 v31, v31, v10
	v_add_f32_e32 v49, v49, v11
	v_sub_f32_e32 v43, v50, v80
	v_fma_f32 v22, 0x3f167918, v23, -v22
	v_mul_f32_e32 v23, 0x3f4f1bbd, v23
	v_add_f32_e32 v25, v25, v40
	v_add_f32_e32 v26, v26, v41
	;; [unrolled: 1-line block ×4, first 2 shown]
	v_fmac_f32_e32 v9, 0x3f167918, v48
	v_fma_f32 v31, 0xbf167918, v24, -v23
	v_add_f32_e32 v23, v25, v44
	v_add_f32_e32 v25, v26, v45
	;; [unrolled: 1-line block ×4, first 2 shown]
	v_fmac_f32_e32 v13, 0x3f4f1bbd, v48
	v_add_f32_e32 v52, v1, v22
	v_add_f32_e32 v53, v20, v31
	v_sub_f32_e32 v48, v23, v24
	v_sub_f32_e32 v49, v25, v26
	;; [unrolled: 1-line block ×5, first 2 shown]
	ds_write2_b64 v73, v[34:35], v[38:39] offset0:2 offset1:3
	ds_write2_b64 v73, v[46:47], v[42:43] offset0:4 offset1:5
	;; [unrolled: 1-line block ×4, first 2 shown]
	s_and_saveexec_b32 s1, s0
	s_cbranch_execz .LBB0_21
; %bb.20:
	v_add_f32_e32 v34, v33, v45
	v_sub_f32_e32 v33, v37, v33
	v_add_f32_e32 v35, v7, v19
	v_sub_f32_e32 v37, v41, v45
	v_add_f32_e32 v38, v6, v18
	v_fma_f32 v29, -0.5, v34, v29
	v_sub_f32_e32 v7, v11, v7
	v_fmac_f32_e32 v3, -0.5, v35
	v_add_f32_e32 v11, v33, v37
	v_fma_f32 v33, -0.5, v38, v2
	v_fmamk_f32 v34, v21, 0xbf737871, v29
	v_fmac_f32_e32 v29, 0x3f737871, v21
	v_sub_f32_e32 v2, v15, v19
	v_fmamk_f32 v15, v27, 0xbf737871, v3
	v_sub_f32_e32 v6, v10, v6
	v_sub_f32_e32 v10, v14, v18
	v_fmamk_f32 v14, v30, 0x3f737871, v33
	v_fmac_f32_e32 v34, 0x3f167918, v12
	v_fmac_f32_e32 v33, 0xbf737871, v30
	;; [unrolled: 1-line block ×3, first 2 shown]
	v_add_f32_e32 v12, v32, v44
	v_fmac_f32_e32 v3, 0x3f737871, v27
	v_add_f32_e32 v7, v7, v2
	v_fmac_f32_e32 v15, 0x3f167918, v16
	;; [unrolled: 2-line block ×3, first 2 shown]
	v_fmac_f32_e32 v33, 0x3f167918, v17
	v_fmac_f32_e32 v28, -0.5, v12
	v_fmac_f32_e32 v3, 0xbf167918, v16
	v_fmac_f32_e32 v15, 0x3e9e377a, v7
	;; [unrolled: 1-line block ×6, first 2 shown]
	v_sub_f32_e32 v6, v36, v32
	v_sub_f32_e32 v11, v40, v44
	v_fmamk_f32 v12, v5, 0x3f737871, v28
	v_fmac_f32_e32 v3, 0x3e9e377a, v7
	v_fmac_f32_e32 v28, 0xbf737871, v5
	v_mul_f32_e32 v10, 0x3e9e377a, v15
	v_mul_f32_e32 v7, 0xbf737871, v33
	v_add_f32_e32 v5, v6, v11
	v_fmac_f32_e32 v12, 0xbf167918, v4
	v_mul_f32_e32 v6, 0x3e9e377a, v14
	v_fmac_f32_e32 v28, 0x3f167918, v4
	v_mul_f32_e32 v17, 0x3f737871, v3
	v_fma_f32 v10, 0xbf737871, v14, -v10
	v_fmac_f32_e32 v7, 0x3e9e377a, v3
	v_fmac_f32_e32 v12, 0x3e9e377a, v5
	v_fma_f32 v15, 0x3f737871, v15, -v6
	v_fmac_f32_e32 v28, 0x3e9e377a, v5
	v_fmac_f32_e32 v17, 0x3e9e377a, v33
	v_sub_f32_e32 v4, v34, v10
	v_sub_f32_e32 v6, v29, v7
	;; [unrolled: 1-line block ×3, first 2 shown]
	v_add_f32_e32 v11, v34, v10
	v_add_f32_e32 v14, v29, v7
	;; [unrolled: 1-line block ×7, first 2 shown]
	v_add_nc_u32_e32 v0, 0x3840, v73
	v_add_f32_e32 v13, v28, v17
	v_add_nc_u32_e32 v9, 0x3850, v73
	v_add_nc_u32_e32 v12, 0x3860, v73
	v_sub_f32_e32 v5, v28, v17
	v_add_nc_u32_e32 v17, 0x3870, v73
	v_sub_f32_e32 v2, v20, v31
	v_sub_f32_e32 v1, v1, v22
	v_add_nc_u32_e32 v18, 0x3880, v73
	ds_write2_b64 v0, v[15:16], v[7:8] offset1:1
	ds_write2_b64 v9, v[13:14], v[10:11] offset1:1
	;; [unrolled: 1-line block ×5, first 2 shown]
.LBB0_21:
	s_or_b32 exec_lo, exec_lo, s1
	v_add_nc_u32_e32 v0, 0x400, v64
	s_waitcnt lgkmcnt(0)
	s_barrier
	buffer_gl0_inv
	ds_read2_b64 v[4:7], v64 offset1:90
	ds_read2_b64 v[20:23], v66 offset0:110 offset1:200
	ds_read2_b64 v[16:19], v72 offset0:92 offset1:182
	;; [unrolled: 1-line block ×6, first 2 shown]
	v_add_nc_u32_e32 v24, 0x3c00, v64
	ds_read2_b64 v[36:39], v71 offset0:86 offset1:176
	ds_read2_b64 v[32:35], v65 offset0:68 offset1:158
	;; [unrolled: 1-line block ×5, first 2 shown]
	v_cmp_gt_u32_e64 s0, 30, v60
	s_and_saveexec_b32 s1, s0
	s_cbranch_execz .LBB0_23
; %bb.22:
	ds_read_b64 v[52:53], v64 offset:5760
	ds_read_b64 v[48:49], v64 offset:11760
	;; [unrolled: 1-line block ×3, first 2 shown]
.LBB0_23:
	s_or_b32 exec_lo, exec_lo, s1
	v_add_nc_u32_e32 v58, 0xb4, v60
	v_mov_b32_e32 v54, 0xcccd
	v_add_nc_u32_e32 v56, 0x168, v60
	v_add_nc_u32_e32 v57, 0x10e, v60
	;; [unrolled: 1-line block ×3, first 2 shown]
	v_mov_b32_e32 v103, 4
	v_mul_u32_u24_sdwa v55, v58, v54 dst_sel:DWORD dst_unused:UNUSED_PAD src0_sel:WORD_0 src1_sel:DWORD
	v_mul_u32_u24_sdwa v61, v56, v54 dst_sel:DWORD dst_unused:UNUSED_PAD src0_sel:WORD_0 src1_sel:DWORD
	;; [unrolled: 1-line block ×3, first 2 shown]
	v_add_nc_u32_e32 v67, 0x21c, v60
	v_add_nc_u32_e32 v66, 0x276, v60
	v_lshrrev_b32_e32 v107, 19, v55
	v_lshrrev_b32_e32 v109, 19, v61
	v_and_b32_e32 v55, 0xff, v60
	v_lshrrev_b32_e32 v108, 19, v59
	v_mul_u32_u24_sdwa v69, v67, v54 dst_sel:DWORD dst_unused:UNUSED_PAD src0_sel:WORD_0 src1_sel:DWORD
	v_mul_lo_u16 v59, v107, 10
	v_mul_lo_u16 v70, v109, 10
	;; [unrolled: 1-line block ×4, first 2 shown]
	v_lshrrev_b32_e32 v115, 19, v69
	v_sub_nc_u16 v110, v58, v59
	v_mul_u32_u24_sdwa v59, v65, v54 dst_sel:DWORD dst_unused:UNUSED_PAD src0_sel:WORD_0 src1_sel:DWORD
	v_sub_nc_u16 v113, v56, v70
	v_sub_nc_u16 v111, v57, v61
	v_lshrrev_b16 v114, 11, v68
	v_lshlrev_b32_sdwa v61, v103, v110 dst_sel:DWORD dst_unused:UNUSED_PAD src0_sel:DWORD src1_sel:WORD_0
	v_lshrrev_b32_e32 v112, 19, v59
	v_lshlrev_b32_sdwa v68, v103, v113 dst_sel:DWORD dst_unused:UNUSED_PAD src0_sel:DWORD src1_sel:WORD_0
	v_mul_u32_u24_sdwa v59, v66, v54 dst_sel:DWORD dst_unused:UNUSED_PAD src0_sel:WORD_0 src1_sel:DWORD
	v_mul_lo_u16 v69, v114, 10
	global_load_dwordx4 v[71:74], v61, s[8:9]
	v_lshlrev_b32_sdwa v70, v103, v111 dst_sel:DWORD dst_unused:UNUSED_PAD src0_sel:DWORD src1_sel:WORD_0
	global_load_dwordx4 v[79:82], v68, s[8:9]
	v_mul_lo_u16 v61, v112, 10
	v_mul_lo_u16 v68, v115, 10
	v_lshrrev_b32_e32 v117, 19, v59
	v_sub_nc_u16 v118, v60, v69
	global_load_dwordx4 v[75:78], v70, s[8:9]
	v_sub_nc_u16 v116, v65, v61
	v_add_nc_u32_e32 v61, 0x2d0, v60
	v_sub_nc_u16 v119, v67, v68
	v_mul_lo_u16 v70, v117, 10
	v_lshlrev_b32_sdwa v87, v103, v118 dst_sel:DWORD dst_unused:UNUSED_PAD src0_sel:DWORD src1_sel:BYTE_0
	v_lshlrev_b32_sdwa v59, v103, v116 dst_sel:DWORD dst_unused:UNUSED_PAD src0_sel:DWORD src1_sel:WORD_0
	v_mul_u32_u24_sdwa v54, v61, v54 dst_sel:DWORD dst_unused:UNUSED_PAD src0_sel:WORD_0 src1_sel:DWORD
	v_mov_b32_e32 v123, 0xf0
	v_sub_nc_u16 v120, v66, v70
	s_clause 0x1
	global_load_dwordx4 v[87:90], v87, s[8:9]
	global_load_dwordx4 v[83:86], v59, s[8:9]
	v_lshrrev_b32_e32 v69, 19, v54
	v_lshlrev_b32_sdwa v54, v103, v119 dst_sel:DWORD dst_unused:UNUSED_PAD src0_sel:DWORD src1_sel:WORD_0
	v_lshlrev_b32_sdwa v95, v103, v120 dst_sel:DWORD dst_unused:UNUSED_PAD src0_sel:DWORD src1_sel:WORD_0
	v_mul_u32_u24_e32 v107, 0xf0, v107
	v_mul_u32_u24_e32 v112, 0xf0, v112
	v_mul_lo_u16 v70, v69, 10
	global_load_dwordx4 v[91:94], v54, s[8:9]
	v_add_nc_u32_e32 v59, 0x5a, v60
	global_load_dwordx4 v[95:98], v95, s[8:9]
	v_mul_u32_u24_sdwa v114, v114, v123 dst_sel:DWORD dst_unused:UNUSED_PAD src0_sel:WORD_0 src1_sel:DWORD
	v_sub_nc_u16 v70, v61, v70
	v_mul_u32_u24_e32 v109, 0xf0, v109
	v_and_b32_e32 v68, 0xff, v59
	v_mul_u32_u24_e32 v115, 0xf0, v115
	v_mul_u32_u24_e32 v117, 0xf0, v117
	v_lshlrev_b32_sdwa v99, v103, v70 dst_sel:DWORD dst_unused:UNUSED_PAD src0_sel:DWORD src1_sel:WORD_0
	v_mul_u32_u24_e32 v108, 0xf0, v108
	v_mul_lo_u16 v54, 0xcd, v68
	global_load_dwordx4 v[99:102], v99, s[8:9]
	v_lshrrev_b16 v121, 11, v54
	v_mul_lo_u16 v54, v121, 10
	v_mul_u32_u24_sdwa v121, v121, v123 dst_sel:DWORD dst_unused:UNUSED_PAD src0_sel:WORD_0 src1_sel:DWORD
	v_sub_nc_u16 v122, v59, v54
	v_lshlrev_b32_sdwa v54, v103, v122 dst_sel:DWORD dst_unused:UNUSED_PAD src0_sel:DWORD src1_sel:BYTE_0
	global_load_dwordx4 v[103:106], v54, s[8:9]
	v_mov_b32_e32 v54, 3
	s_waitcnt vmcnt(0) lgkmcnt(0)
	s_barrier
	buffer_gl0_inv
	v_lshlrev_b32_sdwa v110, v54, v110 dst_sel:DWORD dst_unused:UNUSED_PAD src0_sel:DWORD src1_sel:WORD_0
	v_lshlrev_b32_sdwa v116, v54, v116 dst_sel:DWORD dst_unused:UNUSED_PAD src0_sel:DWORD src1_sel:WORD_0
	v_lshlrev_b32_sdwa v118, v54, v118 dst_sel:DWORD dst_unused:UNUSED_PAD src0_sel:DWORD src1_sel:BYTE_0
	v_lshlrev_b32_sdwa v113, v54, v113 dst_sel:DWORD dst_unused:UNUSED_PAD src0_sel:DWORD src1_sel:WORD_0
	v_lshlrev_b32_sdwa v119, v54, v119 dst_sel:DWORD dst_unused:UNUSED_PAD src0_sel:DWORD src1_sel:WORD_0
	;; [unrolled: 1-line block ×3, first 2 shown]
	v_add3_u32 v107, 0, v107, v110
	v_add3_u32 v110, 0, v112, v116
	;; [unrolled: 1-line block ×6, first 2 shown]
	v_lshlrev_b32_sdwa v111, v54, v111 dst_sel:DWORD dst_unused:UNUSED_PAD src0_sel:DWORD src1_sel:WORD_0
	v_add3_u32 v108, 0, v108, v111
	v_lshlrev_b32_sdwa v111, v54, v122 dst_sel:DWORD dst_unused:UNUSED_PAD src0_sel:DWORD src1_sel:BYTE_0
	v_add3_u32 v111, 0, v121, v111
	v_mul_f32_e32 v116, v74, v41
	v_mul_f32_e32 v74, v74, v40
	v_mul_f32_e32 v115, v72, v45
	v_mul_f32_e32 v72, v72, v44
	v_mul_f32_e32 v119, v37, v80
	v_mul_f32_e32 v80, v36, v80
	v_mul_f32_e32 v120, v33, v82
	v_mul_f32_e32 v117, v76, v47
	v_mul_f32_e32 v76, v76, v46
	v_mul_f32_e32 v118, v43, v78
	v_mul_f32_e32 v78, v42, v78
	v_fmac_f32_e32 v74, v73, v41
	v_mul_f32_e32 v41, v32, v82
	v_fma_f32 v44, v71, v44, -v115
	v_fmac_f32_e32 v72, v71, v45
	v_fma_f32 v40, v73, v40, -v116
	v_fma_f32 v46, v75, v46, -v117
	v_fmac_f32_e32 v76, v75, v47
	v_mul_f32_e32 v45, v39, v84
	v_mul_f32_e32 v71, v38, v84
	;; [unrolled: 1-line block ×7, first 2 shown]
	v_fmac_f32_e32 v78, v43, v77
	v_mul_f32_e32 v43, v90, v16
	v_mul_f32_e32 v86, v28, v92
	;; [unrolled: 1-line block ×4, first 2 shown]
	v_fma_f32 v42, v42, v77, -v118
	v_mul_f32_e32 v77, v29, v92
	v_mul_f32_e32 v92, v31, v96
	;; [unrolled: 1-line block ×4, first 2 shown]
	v_fma_f32 v36, v36, v79, -v119
	v_fmac_f32_e32 v80, v37, v79
	v_fma_f32 v37, v32, v81, -v120
	v_fmac_f32_e32 v41, v33, v81
	v_mul_f32_e32 v79, v26, v98
	v_mul_f32_e32 v81, v49, v100
	v_mul_f32_e32 v32, v48, v100
	v_mul_f32_e32 v98, v51, v102
	v_mul_f32_e32 v33, v50, v102
	v_fmac_f32_e32 v71, v39, v83
	v_fmac_f32_e32 v47, v35, v85
	v_fma_f32 v20, v87, v20, -v75
	v_fmac_f32_e32 v82, v87, v21
	v_fma_f32 v21, v89, v16, -v84
	;; [unrolled: 2-line block ×3, first 2 shown]
	v_fmac_f32_e32 v90, v25, v93
	v_fmac_f32_e32 v43, v89, v17
	v_fma_f32 v17, v48, v99, -v81
	v_fmac_f32_e32 v32, v49, v99
	v_fma_f32 v16, v50, v101, -v98
	;; [unrolled: 2-line block ×3, first 2 shown]
	v_sub_f32_e32 v50, v20, v21
	v_fma_f32 v34, v34, v85, -v73
	v_fma_f32 v28, v28, v91, -v77
	v_mul_f32_e32 v24, v104, v23
	v_mul_f32_e32 v25, v104, v22
	v_mul_f32_e32 v35, v106, v19
	v_mul_f32_e32 v39, v106, v18
	v_fma_f32 v30, v30, v95, -v92
	v_fma_f32 v22, v103, v22, -v24
	v_fmac_f32_e32 v25, v103, v23
	v_fma_f32 v45, v105, v18, -v35
	v_fmac_f32_e32 v39, v105, v19
	v_add_f32_e32 v18, v4, v20
	v_add_f32_e32 v23, v20, v21
	;; [unrolled: 1-line block ×3, first 2 shown]
	v_fmac_f32_e32 v94, v31, v95
	v_fma_f32 v31, v26, v97, -v96
	v_fmac_f32_e32 v79, v27, v97
	v_add_f32_e32 v19, v5, v82
	v_add_f32_e32 v24, v82, v43
	;; [unrolled: 1-line block ×7, first 2 shown]
	v_sub_f32_e32 v51, v72, v74
	v_add_f32_e32 v27, v1, v72
	v_sub_f32_e32 v44, v44, v40
	v_add_f32_e32 v72, v46, v42
	v_add_f32_e32 v20, v20, v40
	;; [unrolled: 1-line block ×4, first 2 shown]
	v_sub_f32_e32 v35, v82, v43
	v_sub_f32_e32 v73, v76, v78
	v_add_f32_e32 v75, v3, v76
	v_add_f32_e32 v76, v76, v78
	;; [unrolled: 1-line block ×4, first 2 shown]
	v_sub_f32_e32 v82, v80, v41
	v_add_f32_e32 v83, v9, v80
	v_add_f32_e32 v80, v80, v41
	v_sub_f32_e32 v84, v36, v37
	v_add_f32_e32 v36, v10, v38
	v_add_f32_e32 v85, v38, v34
	;; [unrolled: 3-line block ×5, first 2 shown]
	v_add_f32_e32 v97, v30, v31
	v_sub_f32_e32 v98, v94, v79
	v_add_f32_e32 v99, v15, v94
	v_add_f32_e32 v94, v94, v79
	v_sub_f32_e32 v102, v32, v33
	v_sub_f32_e32 v104, v17, v16
	v_add_f32_e32 v19, v19, v43
	v_fma_f32 v4, -0.5, v23, v4
	v_fma_f32 v5, -0.5, v24, v5
	v_add_f32_e32 v43, v6, v22
	v_fma_f32 v0, -0.5, v26, v0
	v_fma_f32 v1, -0.5, v48, v1
	v_sub_f32_e32 v106, v22, v45
	v_add_f32_e32 v22, v49, v42
	v_fma_f32 v48, -0.5, v101, v52
	v_fma_f32 v49, -0.5, v103, v53
	v_add_f32_e32 v18, v18, v21
	v_add_f32_e32 v21, v27, v74
	v_sub_f32_e32 v74, v25, v39
	v_fma_f32 v2, -0.5, v72, v2
	v_add_f32_e32 v72, v7, v25
	v_fma_f32 v6, -0.5, v40, v6
	v_fmac_f32_e32 v7, -0.5, v105
	v_sub_f32_e32 v46, v46, v42
	v_sub_f32_e32 v95, v28, v29
	v_add_f32_e32 v96, v14, v30
	v_sub_f32_e32 v100, v30, v31
	v_fmac_f32_e32 v3, -0.5, v76
	v_fma_f32 v8, -0.5, v81, v8
	v_fma_f32 v9, -0.5, v80, v9
	v_add_f32_e32 v26, v36, v34
	v_fma_f32 v10, -0.5, v85, v10
	v_fmac_f32_e32 v11, -0.5, v71
	v_add_f32_e32 v28, v38, v29
	v_fma_f32 v12, -0.5, v91, v12
	v_fma_f32 v13, -0.5, v86, v13
	;; [unrolled: 1-line block ×3, first 2 shown]
	v_fmac_f32_e32 v15, -0.5, v94
	v_fmamk_f32 v34, v35, 0x3f5db3d7, v4
	v_fmac_f32_e32 v4, 0xbf5db3d7, v35
	v_fmamk_f32 v35, v50, 0xbf5db3d7, v5
	v_fmac_f32_e32 v5, 0x3f5db3d7, v50
	;; [unrolled: 2-line block ×5, first 2 shown]
	v_add_f32_e32 v24, v77, v37
	v_add_f32_e32 v36, v43, v45
	;; [unrolled: 1-line block ×3, first 2 shown]
	v_fmamk_f32 v40, v73, 0x3f5db3d7, v2
	v_fmac_f32_e32 v2, 0xbf5db3d7, v73
	v_fmamk_f32 v73, v74, 0x3f5db3d7, v6
	v_fmac_f32_e32 v6, 0xbf5db3d7, v74
	;; [unrolled: 2-line block ×3, first 2 shown]
	v_fmamk_f32 v39, v44, 0xbf5db3d7, v1
	v_add_f32_e32 v23, v75, v78
	v_add_f32_e32 v25, v83, v41
	;; [unrolled: 1-line block ×6, first 2 shown]
	v_fmac_f32_e32 v1, 0x3f5db3d7, v44
	v_fmamk_f32 v41, v46, 0xbf5db3d7, v3
	v_fmac_f32_e32 v3, 0x3f5db3d7, v46
	v_fmamk_f32 v42, v82, 0x3f5db3d7, v8
	;; [unrolled: 2-line block ×9, first 2 shown]
	v_fmac_f32_e32 v15, 0x3f5db3d7, v100
	ds_write2_b64 v114, v[18:19], v[34:35] offset1:10
	ds_write_b64 v114, v[4:5] offset:160
	ds_write2_b64 v111, v[36:37], v[73:74] offset1:10
	ds_write_b64 v111, v[6:7] offset:160
	ds_write2_b64 v107, v[20:21], v[38:39] offset1:10
	ds_write_b64 v107, v[0:1] offset:160
	ds_write2_b64 v108, v[22:23], v[40:41] offset1:10
	ds_write_b64 v108, v[2:3] offset:160
	ds_write2_b64 v109, v[24:25], v[42:43] offset1:10
	ds_write_b64 v109, v[8:9] offset:160
	ds_write2_b64 v110, v[26:27], v[44:45] offset1:10
	ds_write_b64 v110, v[10:11] offset:160
	ds_write2_b64 v112, v[28:29], v[46:47] offset1:10
	ds_write_b64 v112, v[12:13] offset:160
	ds_write2_b64 v113, v[30:31], v[71:72] offset1:10
	ds_write_b64 v113, v[14:15] offset:160
	s_and_saveexec_b32 s1, s0
	s_cbranch_execz .LBB0_25
; %bb.24:
	v_mul_lo_u16 v0, v69, 30
	v_add_f32_e32 v1, v53, v32
	v_add_f32_e32 v2, v52, v17
	v_lshlrev_b32_sdwa v3, v54, v70 dst_sel:DWORD dst_unused:UNUSED_PAD src0_sel:DWORD src1_sel:WORD_0
	v_lshlrev_b32_sdwa v4, v54, v0 dst_sel:DWORD dst_unused:UNUSED_PAD src0_sel:DWORD src1_sel:WORD_0
	v_add_f32_e32 v1, v1, v33
	v_add_f32_e32 v0, v2, v16
	v_add3_u32 v2, 0, v3, v4
	ds_write2_b64 v2, v[0:1], v[50:51] offset1:10
	ds_write_b64 v2, v[48:49] offset:160
.LBB0_25:
	s_or_b32 exec_lo, exec_lo, s1
	v_mul_lo_u16 v0, 0x89, v55
	v_mov_b32_e32 v2, 5
	v_mul_lo_u16 v1, 0x89, v68
	v_mov_b32_e32 v3, 0x8889
	s_waitcnt lgkmcnt(0)
	v_lshrrev_b16 v14, 12, v0
	s_barrier
	v_lshrrev_b16 v15, 12, v1
	buffer_gl0_inv
	v_add_nc_u32_e32 v16, 0x800, v64
	v_mul_lo_u16 v0, v14, 30
	v_add_nc_u32_e32 v19, 0x1800, v64
	v_mul_lo_u16 v1, v15, 30
	v_add_nc_u32_e32 v20, 0x3800, v64
	v_add_nc_u32_e32 v25, 0x1000, v64
	v_sub_nc_u16 v18, v60, v0
	v_add_nc_u32_e32 v24, 0x2800, v64
	v_sub_nc_u16 v23, v59, v1
	v_add_nc_u32_e32 v21, 0x2000, v64
	v_add_nc_u32_e32 v28, 0x3c00, v64
	v_lshlrev_b32_sdwa v0, v2, v18 dst_sel:DWORD dst_unused:UNUSED_PAD src0_sel:DWORD src1_sel:BYTE_0
	v_add_nc_u32_e32 v27, 0x1400, v64
	v_lshlrev_b32_sdwa v1, v2, v23 dst_sel:DWORD dst_unused:UNUSED_PAD src0_sel:DWORD src1_sel:BYTE_0
	v_add_nc_u32_e32 v26, 0x3000, v64
	v_add_nc_u32_e32 v33, 0x400, v64
	s_clause 0x1
	global_load_dwordx4 v[34:37], v0, s[8:9] offset:160
	global_load_dwordx4 v[38:41], v0, s[8:9] offset:176
	v_mul_u32_u24_sdwa v0, v58, v3 dst_sel:DWORD dst_unused:UNUSED_PAD src0_sel:WORD_0 src1_sel:DWORD
	s_clause 0x1
	global_load_dwordx4 v[68:71], v1, s[8:9] offset:160
	global_load_dwordx4 v[72:75], v1, s[8:9] offset:176
	v_lshlrev_b32_sdwa v18, v54, v18 dst_sel:DWORD dst_unused:UNUSED_PAD src0_sel:DWORD src1_sel:BYTE_0
	v_lshrrev_b32_e32 v17, 20, v0
	v_mul_u32_u24_sdwa v0, v57, v3 dst_sel:DWORD dst_unused:UNUSED_PAD src0_sel:WORD_0 src1_sel:DWORD
	v_mul_lo_u16 v4, v17, 30
	v_lshrrev_b32_e32 v22, 20, v0
	v_mul_u32_u24_sdwa v0, v56, v3 dst_sel:DWORD dst_unused:UNUSED_PAD src0_sel:WORD_0 src1_sel:DWORD
	v_sub_nc_u16 v29, v58, v4
	v_mul_lo_u16 v1, v22, 30
	v_lshrrev_b32_e32 v30, 20, v0
	v_add_nc_u32_e32 v4, 0x2400, v64
	v_lshlrev_b32_sdwa v3, v2, v29 dst_sel:DWORD dst_unused:UNUSED_PAD src0_sel:DWORD src1_sel:WORD_0
	v_sub_nc_u16 v32, v57, v1
	v_mul_lo_u16 v0, v30, 30
	s_clause 0x1
	global_load_dwordx4 v[80:83], v3, s[8:9] offset:160
	global_load_dwordx4 v[86:89], v3, s[8:9] offset:176
	v_sub_nc_u16 v31, v56, v0
	v_lshlrev_b32_sdwa v1, v2, v32 dst_sel:DWORD dst_unused:UNUSED_PAD src0_sel:DWORD src1_sel:WORD_0
	s_clause 0x1
	global_load_dwordx4 v[90:93], v1, s[8:9] offset:160
	global_load_dwordx4 v[94:97], v1, s[8:9] offset:176
	v_lshlrev_b32_sdwa v0, v2, v31 dst_sel:DWORD dst_unused:UNUSED_PAD src0_sel:DWORD src1_sel:WORD_0
	s_clause 0x1
	global_load_dwordx4 v[98:101], v0, s[8:9] offset:160
	global_load_dwordx4 v[102:105], v0, s[8:9] offset:176
	ds_read2_b64 v[0:3], v16 offset0:104 offset1:194
	ds_read2_b64 v[76:79], v19 offset0:132 offset1:222
	;; [unrolled: 1-line block ×3, first 2 shown]
	ds_read2_b64 v[8:11], v64 offset1:90
	ds_read2_b64 v[110:113], v20 offset0:8 offset1:98
	ds_read_b64 v[12:13], v64 offset:17280
	ds_read2_b64 v[114:117], v25 offset0:28 offset1:118
	ds_read2_b64 v[118:121], v24 offset0:160 offset1:250
	;; [unrolled: 1-line block ×7, first 2 shown]
	s_waitcnt vmcnt(0) lgkmcnt(0)
	s_barrier
	buffer_gl0_inv
	v_mul_f32_e32 v42, v35, v3
	v_mul_f32_e32 v84, v35, v2
	;; [unrolled: 1-line block ×5, first 2 shown]
	v_fma_f32 v2, v34, v2, -v42
	v_fmac_f32_e32 v84, v34, v3
	v_fma_f32 v3, v36, v76, -v35
	v_mul_f32_e32 v34, v111, v41
	v_mul_f32_e32 v35, v79, v71
	;; [unrolled: 1-line block ×3, first 2 shown]
	v_fmac_f32_e32 v138, v36, v77
	v_mul_f32_e32 v45, v110, v41
	v_fmac_f32_e32 v85, v109, v38
	v_fma_f32 v53, v110, v40, -v34
	v_mul_f32_e32 v34, v115, v69
	v_mul_f32_e32 v109, v114, v69
	v_mul_f32_e32 v36, v113, v75
	v_fma_f32 v110, v78, v70, -v35
	v_mul_f32_e32 v35, v119, v73
	v_mul_f32_e32 v139, v78, v71
	v_fma_f32 v108, v108, v38, -v37
	v_fmac_f32_e32 v45, v111, v40
	v_mul_f32_e32 v47, v112, v75
	v_mul_f32_e32 v111, v118, v73
	v_fma_f32 v114, v114, v68, -v34
	v_fmac_f32_e32 v109, v115, v68
	v_fma_f32 v68, v112, v74, -v36
	v_fma_f32 v112, v118, v72, -v35
	v_mul_f32_e32 v34, v117, v81
	v_mul_f32_e32 v78, v116, v81
	;; [unrolled: 1-line block ×8, first 2 shown]
	v_fmac_f32_e32 v139, v79, v70
	v_fmac_f32_e32 v47, v113, v74
	;; [unrolled: 1-line block ×3, first 2 shown]
	v_mul_f32_e32 v38, v127, v89
	v_mul_f32_e32 v43, v126, v89
	;; [unrolled: 1-line block ×5, first 2 shown]
	v_fma_f32 v79, v116, v80, -v34
	v_fmac_f32_e32 v78, v117, v80
	v_mul_f32_e32 v73, v135, v95
	v_mul_f32_e32 v76, v133, v99
	;; [unrolled: 1-line block ×3, first 2 shown]
	v_fma_f32 v74, v122, v82, -v35
	v_fmac_f32_e32 v71, v123, v82
	v_mul_f32_e32 v77, v107, v101
	v_mul_f32_e32 v35, v106, v101
	v_mul_f32_e32 v80, v137, v103
	v_mul_f32_e32 v36, v136, v103
	v_fma_f32 v72, v120, v86, -v37
	v_fmac_f32_e32 v44, v121, v86
	v_mul_f32_e32 v81, v13, v105
	v_mul_f32_e32 v37, v12, v105
	v_fma_f32 v82, v130, v90, -v40
	v_fmac_f32_e32 v52, v131, v90
	v_sub_f32_e32 v86, v2, v3
	v_sub_f32_e32 v87, v53, v108
	v_sub_f32_e32 v89, v3, v2
	v_sub_f32_e32 v90, v108, v53
	v_add_f32_e32 v91, v9, v84
	v_mul_f32_e32 v70, v124, v93
	v_mul_f32_e32 v69, v134, v95
	v_fma_f32 v55, v126, v88, -v38
	v_fmac_f32_e32 v43, v127, v88
	v_fma_f32 v75, v124, v92, -v39
	v_fma_f32 v46, v128, v96, -v42
	v_fmac_f32_e32 v41, v129, v96
	v_fma_f32 v73, v134, v94, -v73
	;; [unrolled: 3-line block ×3, first 2 shown]
	v_fmac_f32_e32 v35, v107, v100
	v_fma_f32 v39, v136, v102, -v80
	v_fmac_f32_e32 v36, v137, v102
	v_fma_f32 v42, v12, v104, -v81
	v_fmac_f32_e32 v37, v13, v104
	v_add_f32_e32 v12, v8, v2
	v_add_f32_e32 v88, v2, v53
	v_sub_f32_e32 v80, v2, v53
	v_sub_f32_e32 v2, v84, v138
	;; [unrolled: 1-line block ×5, first 2 shown]
	v_add_f32_e32 v97, v10, v114
	v_add_f32_e32 v98, v110, v112
	v_sub_f32_e32 v99, v114, v110
	v_sub_f32_e32 v100, v68, v112
	v_add_f32_e32 v101, v114, v68
	v_sub_f32_e32 v102, v110, v114
	v_sub_f32_e32 v103, v112, v68
	v_add_f32_e32 v104, v11, v109
	v_add_f32_e32 v105, v139, v111
	v_sub_f32_e32 v106, v114, v68
	v_sub_f32_e32 v114, v139, v109
	;; [unrolled: 1-line block ×3, first 2 shown]
	v_add_f32_e32 v118, v86, v87
	v_add_f32_e32 v119, v89, v90
	;; [unrolled: 1-line block ×4, first 2 shown]
	v_fmac_f32_e32 v70, v125, v92
	v_fmac_f32_e32 v69, v135, v94
	v_add_f32_e32 v13, v3, v108
	v_sub_f32_e32 v77, v138, v85
	v_add_f32_e32 v92, v138, v85
	v_sub_f32_e32 v81, v3, v108
	;; [unrolled: 2-line block ×3, first 2 shown]
	v_sub_f32_e32 v113, v47, v111
	v_add_f32_e32 v117, v12, v3
	v_add_f32_e32 v120, v2, v93
	v_add_f32_e32 v95, v95, v96
	v_add_f32_e32 v96, v99, v100
	v_fma_f32 v2, -0.5, v98, v10
	v_fma_f32 v10, -0.5, v101, v10
	v_add_f32_e32 v98, v102, v103
	v_add_f32_e32 v87, v104, v139
	v_fma_f32 v3, -0.5, v105, v11
	v_add_f32_e32 v99, v114, v115
	v_add_f32_e32 v100, v71, v44
	v_sub_f32_e32 v101, v78, v71
	v_sub_f32_e32 v102, v43, v44
	;; [unrolled: 1-line block ×6, first 2 shown]
	v_add_f32_e32 v129, v86, v85
	v_fma_f32 v85, -0.5, v89, v4
	v_add_f32_e32 v89, v4, v79
	v_sub_f32_e32 v76, v84, v45
	v_sub_f32_e32 v83, v109, v47
	;; [unrolled: 1-line block ×3, first 2 shown]
	v_add_f32_e32 v109, v109, v47
	v_fma_f32 v12, -0.5, v13, v8
	v_fma_f32 v13, -0.5, v92, v9
	;; [unrolled: 1-line block ×4, first 2 shown]
	v_add_f32_e32 v88, v97, v110
	v_add_f32_e32 v97, v107, v113
	v_sub_f32_e32 v90, v79, v74
	v_sub_f32_e32 v91, v55, v72
	;; [unrolled: 1-line block ×5, first 2 shown]
	v_add_f32_e32 v113, v82, v46
	v_add_f32_e32 v114, v6, v82
	;; [unrolled: 1-line block ×3, first 2 shown]
	v_fma_f32 v86, -0.5, v100, v5
	v_add_f32_e32 v100, v101, v102
	v_add_f32_e32 v102, v104, v105
	;; [unrolled: 1-line block ×3, first 2 shown]
	v_sub_f32_e32 v121, v82, v46
	v_add_f32_e32 v82, v89, v74
	v_sub_f32_e32 v116, v110, v112
	v_fmac_f32_e32 v11, -0.5, v109
	v_add_f32_e32 v92, v79, v55
	v_add_f32_e32 v103, v78, v43
	v_sub_f32_e32 v109, v46, v73
	v_add_f32_e32 v110, v75, v73
	v_add_f32_e32 v122, v70, v69
	;; [unrolled: 1-line block ×4, first 2 shown]
	v_sub_f32_e32 v127, v70, v52
	v_sub_f32_e32 v128, v69, v41
	v_add_f32_e32 v108, v117, v108
	v_add_f32_e32 v133, v90, v91
	;; [unrolled: 1-line block ×7, first 2 shown]
	v_sub_f32_e32 v123, v52, v70
	v_add_f32_e32 v112, v88, v112
	v_fma_f32 v87, -0.5, v92, v4
	v_fma_f32 v88, -0.5, v103, v5
	v_sub_f32_e32 v101, v74, v72
	v_add_f32_e32 v103, v107, v109
	v_fma_f32 v4, -0.5, v110, v6
	v_fma_f32 v6, -0.5, v113, v6
	;; [unrolled: 1-line block ×3, first 2 shown]
	v_sub_f32_e32 v109, v70, v69
	v_sub_f32_e32 v113, v79, v55
	v_fmac_f32_e32 v7, -0.5, v125
	v_add_f32_e32 v125, v127, v128
	v_add_f32_e32 v127, v90, v71
	v_fmamk_f32 v79, v80, 0xbf737871, v13
	v_fmac_f32_e32 v13, 0x3f737871, v80
	v_add_f32_e32 v114, v114, v75
	v_add_f32_e32 v126, v126, v70
	v_fmamk_f32 v70, v83, 0x3f737871, v2
	v_fmac_f32_e32 v2, 0xbf737871, v83
	v_add_f32_e32 v74, v108, v53
	v_fmamk_f32 v92, v116, 0x3f737871, v11
	v_fmac_f32_e32 v11, 0xbf737871, v116
	v_add_f32_e32 v53, v134, v38
	v_add_f32_e32 v82, v47, v55
	;; [unrolled: 1-line block ×3, first 2 shown]
	v_sub_f32_e32 v124, v41, v69
	v_sub_f32_e32 v104, v71, v44
	v_fmamk_f32 v90, v81, 0x3f737871, v9
	v_fmac_f32_e32 v9, 0xbf737871, v81
	v_fmamk_f32 v91, v84, 0xbf737871, v10
	v_fmac_f32_e32 v10, 0x3f737871, v84
	;; [unrolled: 2-line block ×3, first 2 shown]
	v_fmac_f32_e32 v79, 0xbf167918, v81
	v_fmac_f32_e32 v13, 0x3f167918, v81
	;; [unrolled: 1-line block ×6, first 2 shown]
	v_add_f32_e32 v81, v127, v44
	v_add_f32_e32 v84, v114, v73
	;; [unrolled: 1-line block ×5, first 2 shown]
	v_sub_f32_e32 v117, v40, v38
	v_sub_f32_e32 v130, v42, v39
	v_add_f32_e32 v131, v38, v39
	v_add_f32_e32 v132, v40, v42
	v_sub_f32_e32 v110, v78, v43
	v_sub_f32_e32 v115, v52, v41
	v_add_f32_e32 v122, v123, v124
	v_sub_f32_e32 v123, v34, v37
	v_sub_f32_e32 v124, v35, v36
	v_fmac_f32_e32 v91, 0x3f167918, v83
	v_fmac_f32_e32 v10, 0xbf167918, v83
	v_add_f32_e32 v83, v81, v43
	v_add_f32_e32 v46, v84, v46
	;; [unrolled: 1-line block ×4, first 2 shown]
	v_sub_f32_e32 v43, v38, v40
	v_sub_f32_e32 v53, v39, v42
	v_add_f32_e32 v81, v35, v36
	v_sub_f32_e32 v40, v40, v42
	v_add_f32_e32 v42, v55, v36
	v_add_f32_e32 v55, v34, v37
	v_sub_f32_e32 v38, v38, v39
	v_sub_f32_e32 v39, v34, v35
	;; [unrolled: 1-line block ×5, first 2 shown]
	v_mov_b32_e32 v36, 0x4b0
	v_fmamk_f32 v78, v76, 0x3f737871, v12
	v_fmamk_f32 v89, v77, 0xbf737871, v8
	v_fmac_f32_e32 v8, 0x3f737871, v77
	v_fmac_f32_e32 v12, 0xbf737871, v76
	v_mul_u32_u24_sdwa v14, v14, v36 dst_sel:DWORD dst_unused:UNUSED_PAD src0_sel:WORD_0 src1_sel:DWORD
	v_fmac_f32_e32 v78, 0x3f167918, v77
	v_fmac_f32_e32 v89, 0x3f167918, v76
	;; [unrolled: 1-line block ×7, first 2 shown]
	v_add3_u32 v14, 0, v14, v18
	v_mul_u32_u24_sdwa v15, v15, v36 dst_sel:DWORD dst_unused:UNUSED_PAD src0_sel:WORD_0 src1_sel:DWORD
	v_lshlrev_b32_sdwa v18, v54, v23 dst_sel:DWORD dst_unused:UNUSED_PAD src0_sel:DWORD src1_sel:BYTE_0
	v_sub_f32_e32 v107, v75, v73
	v_fma_f32 v52, -0.5, v131, v0
	v_fma_f32 v0, -0.5, v132, v0
	v_add_f32_e32 v75, v129, v45
	v_fmac_f32_e32 v78, 0x3e9e377a, v118
	v_fmac_f32_e32 v89, 0x3e9e377a, v119
	;; [unrolled: 1-line block ×6, first 2 shown]
	v_add_f32_e32 v43, v43, v53
	v_fma_f32 v53, -0.5, v81, v1
	v_fmamk_f32 v44, v110, 0x3f737871, v85
	v_fmac_f32_e32 v85, 0xbf737871, v110
	v_fmamk_f32 v45, v113, 0xbf737871, v86
	v_fmac_f32_e32 v86, 0x3f737871, v113
	v_fmac_f32_e32 v12, 0x3e9e377a, v118
	;; [unrolled: 1-line block ×3, first 2 shown]
	v_fmac_f32_e32 v1, -0.5, v55
	v_add_f32_e32 v93, v112, v68
	v_fmac_f32_e32 v3, 0x3f167918, v116
	v_fmamk_f32 v68, v104, 0xbf737871, v87
	v_fmac_f32_e32 v87, 0x3f737871, v104
	v_fmamk_f32 v69, v101, 0x3f737871, v88
	;; [unrolled: 2-line block ×3, first 2 shown]
	v_fmamk_f32 v73, v121, 0xbf737871, v5
	v_fmac_f32_e32 v70, 0x3e9e377a, v96
	v_fmac_f32_e32 v71, 0x3e9e377a, v97
	v_add3_u32 v15, 0, v15, v18
	v_fmamk_f32 v76, v109, 0xbf737871, v6
	v_fmac_f32_e32 v6, 0x3f737871, v109
	v_fmamk_f32 v77, v107, 0x3f737871, v7
	v_fmac_f32_e32 v7, 0xbf737871, v107
	v_fmac_f32_e32 v91, 0x3e9e377a, v98
	;; [unrolled: 1-line block ×7, first 2 shown]
	v_fmamk_f32 v80, v123, 0x3f737871, v52
	v_fmamk_f32 v95, v124, 0xbf737871, v0
	v_fmac_f32_e32 v0, 0x3f737871, v124
	v_fmamk_f32 v81, v40, 0xbf737871, v53
	ds_write2_b64 v14, v[74:75], v[78:79] offset1:30
	ds_write2_b64 v14, v[89:90], v[8:9] offset0:60 offset1:90
	ds_write_b64 v14, v[12:13] offset:960
	v_mul_u32_u24_e32 v8, 0x4b0, v17
	v_lshlrev_b32_sdwa v9, v54, v29 dst_sel:DWORD dst_unused:UNUSED_PAD src0_sel:DWORD src1_sel:WORD_0
	v_fmac_f32_e32 v2, 0x3e9e377a, v96
	v_fmac_f32_e32 v44, 0x3f167918, v104
	v_fmac_f32_e32 v85, 0xbf167918, v104
	v_fmac_f32_e32 v45, 0xbf167918, v101
	v_fmac_f32_e32 v86, 0x3f167918, v101
	v_fmac_f32_e32 v52, 0xbf737871, v123
	v_fmac_f32_e32 v53, 0x3f737871, v40
	v_fmamk_f32 v96, v38, 0x3f737871, v1
	v_fmac_f32_e32 v1, 0xbf737871, v38
	v_fmac_f32_e32 v3, 0x3e9e377a, v97
	;; [unrolled: 1-line block ×8, first 2 shown]
	ds_write2_b64 v15, v[93:94], v[70:71] offset1:30
	ds_write2_b64 v15, v[91:92], v[10:11] offset0:60 offset1:90
	v_mul_u32_u24_e32 v10, 0x4b0, v22
	v_lshlrev_b32_sdwa v11, v54, v32 dst_sel:DWORD dst_unused:UNUSED_PAD src0_sel:DWORD src1_sel:WORD_0
	v_fmac_f32_e32 v76, 0x3f167918, v115
	v_fmac_f32_e32 v6, 0xbf167918, v115
	;; [unrolled: 1-line block ×6, first 2 shown]
	v_add_f32_e32 v117, v117, v130
	v_fmac_f32_e32 v80, 0x3f167918, v124
	v_fmac_f32_e32 v0, 0xbf167918, v123
	;; [unrolled: 1-line block ×3, first 2 shown]
	v_add_f32_e32 v39, v39, v84
	v_add3_u32 v8, 0, v8, v9
	v_mul_u32_u24_e32 v9, 0x4b0, v30
	v_lshlrev_b32_sdwa v12, v54, v31 dst_sel:DWORD dst_unused:UNUSED_PAD src0_sel:DWORD src1_sel:WORD_0
	v_fmac_f32_e32 v44, 0x3e9e377a, v133
	v_fmac_f32_e32 v85, 0x3e9e377a, v133
	;; [unrolled: 1-line block ×8, first 2 shown]
	v_add_f32_e32 v34, v34, v35
	v_fmac_f32_e32 v1, 0x3f167918, v40
	v_fmac_f32_e32 v68, 0x3e9e377a, v135
	;; [unrolled: 1-line block ×7, first 2 shown]
	ds_write_b64 v15, v[2:3] offset:960
	v_add3_u32 v2, 0, v10, v11
	v_fmac_f32_e32 v76, 0x3e9e377a, v105
	v_fmac_f32_e32 v6, 0x3e9e377a, v105
	;; [unrolled: 1-line block ×8, first 2 shown]
	v_add_f32_e32 v42, v42, v37
	v_fmac_f32_e32 v81, 0x3e9e377a, v39
	v_add3_u32 v3, 0, v9, v12
	v_fmac_f32_e32 v52, 0x3e9e377a, v117
	v_fmac_f32_e32 v95, 0x3e9e377a, v43
	v_fmac_f32_e32 v53, 0x3e9e377a, v39
	v_fmac_f32_e32 v96, 0x3e9e377a, v34
	v_fmac_f32_e32 v1, 0x3e9e377a, v34
	ds_write2_b64 v8, v[82:83], v[44:45] offset1:30
	ds_write2_b64 v8, v[68:69], v[87:88] offset0:60 offset1:90
	ds_write_b64 v8, v[85:86] offset:960
	ds_write2_b64 v2, v[46:47], v[72:73] offset1:30
	ds_write2_b64 v2, v[76:77], v[6:7] offset0:60 offset1:90
	ds_write_b64 v2, v[4:5] offset:960
	;; [unrolled: 3-line block ×3, first 2 shown]
	v_add_nc_u32_e32 v0, 0x2c00, v64
	s_waitcnt lgkmcnt(0)
	s_barrier
	buffer_gl0_inv
	ds_read2_b64 v[12:15], v64 offset1:90
	ds_read2_b64 v[44:47], v27 offset0:110 offset1:200
	ds_read2_b64 v[40:43], v0 offset0:92 offset1:182
	;; [unrolled: 1-line block ×11, first 2 shown]
	s_and_saveexec_b32 s1, s0
	s_cbranch_execz .LBB0_27
; %bb.26:
	ds_read_b64 v[52:53], v64 offset:5760
	ds_read_b64 v[50:51], v64 offset:11760
	;; [unrolled: 1-line block ×3, first 2 shown]
.LBB0_27:
	s_or_b32 exec_lo, exec_lo, s1
	v_lshlrev_b32_e32 v54, 1, v60
	v_subrev_nc_u32_e32 v68, 60, v60
	v_mov_b32_e32 v55, 0
	v_cmp_gt_u32_e64 s1, 60, v60
	v_lshrrev_b16 v77, 1, v57
	v_lshrrev_b16 v86, 1, v65
	;; [unrolled: 1-line block ×4, first 2 shown]
	v_cndmask_b32_e64 v101, v68, v59, s1
	v_lshlrev_b64 v[68:69], 3, v[54:55]
	v_add_nc_u32_e32 v54, 60, v54
	v_mov_b32_e32 v74, v55
	v_mov_b32_e32 v85, 4
	v_lshlrev_b32_e32 v73, 1, v101
	v_mov_b32_e32 v105, 3
	v_add_co_u32 v70, s1, s8, v68
	v_mov_b32_e32 v68, 0xda75
	v_lshlrev_b64 v[75:76], 3, v[54:55]
	v_add_co_ci_u32_e64 v71, s1, s9, v69, s1
	v_lshlrev_b64 v[73:74], 3, v[73:74]
	v_mul_u32_u24_sdwa v54, v77, v68 dst_sel:DWORD dst_unused:UNUSED_PAD src0_sel:WORD_0 src1_sel:DWORD
	v_lshrrev_b16 v77, 1, v67
	v_mul_u32_u24_sdwa v89, v86, v68 dst_sel:DWORD dst_unused:UNUSED_PAD src0_sel:WORD_0 src1_sel:DWORD
	v_mul_u32_u24_sdwa v87, v82, v68 dst_sel:DWORD dst_unused:UNUSED_PAD src0_sel:WORD_0 src1_sel:DWORD
	;; [unrolled: 1-line block ×3, first 2 shown]
	v_lshrrev_b32_e32 v54, 22, v54
	v_mul_u32_u24_sdwa v79, v77, v68 dst_sel:DWORD dst_unused:UNUSED_PAD src0_sel:WORD_0 src1_sel:DWORD
	v_lshrrev_b32_e32 v89, 22, v89
	v_lshrrev_b32_e32 v90, 22, v87
	;; [unrolled: 1-line block ×3, first 2 shown]
	v_mul_lo_u16 v81, 0x96, v54
	v_lshrrev_b32_e32 v102, 22, v79
	v_mul_lo_u16 v89, 0x96, v89
	v_mul_lo_u16 v90, 0x96, v90
	v_add_co_u32 v75, s1, s8, v75
	v_sub_nc_u16 v103, v57, v81
	v_mul_lo_u16 v81, 0x96, v102
	v_sub_nc_u16 v65, v65, v89
	v_mul_lo_u16 v89, 0x96, v91
	global_load_dwordx4 v[69:72], v[70:71], off offset:1120
	v_add_co_ci_u32_e64 v76, s1, s9, v76, s1
	v_sub_nc_u16 v67, v67, v81
	v_sub_nc_u16 v90, v56, v90
	;; [unrolled: 1-line block ×3, first 2 shown]
	v_add_co_u32 v77, s1, s8, v73
	v_add_co_ci_u32_e64 v78, s1, s9, v74, s1
	global_load_dwordx4 v[73:76], v[75:76], off offset:1120
	v_lshlrev_b32_sdwa v83, v85, v103 dst_sel:DWORD dst_unused:UNUSED_PAD src0_sel:DWORD src1_sel:WORD_0
	v_lshlrev_b32_sdwa v85, v85, v67 dst_sel:DWORD dst_unused:UNUSED_PAD src0_sel:DWORD src1_sel:WORD_0
	global_load_dwordx4 v[77:80], v[77:78], off offset:1120
	v_and_b32_e32 v104, 0xffff, v90
	v_and_b32_e32 v66, 0xffff, v66
	v_and_b32_e32 v65, 0xffff, v65
	s_clause 0x1
	global_load_dwordx4 v[81:84], v83, s[8:9] offset:1120
	global_load_dwordx4 v[85:88], v85, s[8:9] offset:1120
	v_lshlrev_b32_e32 v90, 4, v104
	v_lshlrev_b32_e32 v97, 4, v66
	;; [unrolled: 1-line block ×3, first 2 shown]
	v_cmp_lt_u32_e64 s1, 59, v60
	v_lshlrev_b32_e32 v101, 3, v101
	s_clause 0x2
	global_load_dwordx4 v[89:92], v90, s[8:9] offset:1120
	global_load_dwordx4 v[97:100], v97, s[8:9] offset:1120
	global_load_dwordx4 v[93:96], v93, s[8:9] offset:1120
	v_cndmask_b32_e64 v106, 0, 0xe10, s1
	v_lshlrev_b32_sdwa v103, v105, v103 dst_sel:DWORD dst_unused:UNUSED_PAD src0_sel:DWORD src1_sel:WORD_0
	v_lshlrev_b32_sdwa v67, v105, v67 dst_sel:DWORD dst_unused:UNUSED_PAD src0_sel:DWORD src1_sel:WORD_0
	v_mul_u32_u24_e32 v54, 0xe10, v54
	s_waitcnt vmcnt(0) lgkmcnt(0)
	v_add3_u32 v101, 0, v106, v101
	s_barrier
	buffer_gl0_inv
	v_mul_u32_u24_e32 v102, 0xe10, v102
	v_add3_u32 v54, 0, v54, v103
	v_lshl_add_u32 v103, v104, 3, 0
	v_add_nc_u32_e32 v107, 0xc00, v64
	v_lshl_add_u32 v65, v65, 3, 0
	v_lshl_add_u32 v66, v66, 3, 0
	v_add3_u32 v67, 0, v102, v67
	v_add_nc_u32_e32 v102, 0x1c00, v103
	v_add_nc_u32_e32 v104, 0x2800, v65
	;; [unrolled: 1-line block ×3, first 2 shown]
	v_mul_f32_e32 v105, v70, v45
	v_mul_f32_e32 v70, v70, v44
	;; [unrolled: 1-line block ×4, first 2 shown]
	v_fma_f32 v44, v69, v44, -v105
	v_fmac_f32_e32 v70, v69, v45
	v_fma_f32 v40, v71, v40, -v106
	v_fmac_f32_e32 v72, v71, v41
	v_mul_f32_e32 v41, v74, v33
	v_mul_f32_e32 v45, v74, v32
	;; [unrolled: 1-line block ×8, first 2 shown]
	v_fma_f32 v41, v73, v32, -v41
	v_fmac_f32_e32 v45, v73, v33
	v_fma_f32 v36, v75, v36, -v69
	v_fmac_f32_e32 v71, v75, v37
	v_add_f32_e32 v32, v12, v44
	v_add_f32_e32 v33, v44, v40
	v_sub_f32_e32 v37, v70, v72
	v_add_f32_e32 v69, v13, v70
	v_add_f32_e32 v70, v70, v72
	v_mul_f32_e32 v73, v82, v35
	v_mul_f32_e32 v75, v82, v34
	;; [unrolled: 1-line block ×8, first 2 shown]
	v_sub_f32_e32 v44, v44, v40
	v_fma_f32 v46, v77, v46, -v74
	v_fmac_f32_e32 v76, v77, v47
	v_fma_f32 v42, v79, v42, -v78
	v_fmac_f32_e32 v80, v79, v43
	v_add_f32_e32 v32, v32, v40
	v_fma_f32 v12, -0.5, v33, v12
	v_add_f32_e32 v33, v69, v72
	v_fma_f32 v13, -0.5, v70, v13
	v_add_f32_e32 v40, v0, v41
	v_add_f32_e32 v43, v41, v36
	v_fmac_f32_e32 v75, v81, v35
	v_fma_f32 v35, v38, v83, -v82
	v_fmac_f32_e32 v84, v39, v83
	v_mul_f32_e32 v38, v17, v90
	v_mul_f32_e32 v39, v16, v90
	;; [unrolled: 1-line block ×4, first 2 shown]
	v_fma_f32 v79, v24, v85, -v105
	v_fmac_f32_e32 v86, v25, v85
	v_mul_f32_e32 v85, v31, v100
	v_fma_f32 v34, v81, v34, -v73
	v_mul_f32_e32 v73, v19, v94
	v_mul_f32_e32 v74, v18, v94
	;; [unrolled: 1-line block ×4, first 2 shown]
	v_sub_f32_e32 v47, v45, v71
	v_add_f32_e32 v69, v1, v45
	v_add_f32_e32 v45, v45, v71
	v_fma_f32 v81, v28, v87, -v106
	v_fmac_f32_e32 v88, v29, v87
	v_mul_f32_e32 v82, v27, v98
	v_mul_f32_e32 v83, v26, v98
	;; [unrolled: 1-line block ×3, first 2 shown]
	v_sub_f32_e32 v41, v41, v36
	v_fmamk_f32 v24, v37, 0x3f5db3d7, v12
	v_fmamk_f32 v25, v44, 0xbf5db3d7, v13
	v_fmac_f32_e32 v13, 0x3f5db3d7, v44
	v_add_f32_e32 v44, v46, v42
	v_sub_f32_e32 v90, v76, v80
	v_add_f32_e32 v92, v15, v76
	v_add_f32_e32 v76, v76, v80
	v_add_f32_e32 v28, v40, v36
	v_fma_f32 v0, -0.5, v43, v0
	v_fma_f32 v36, v16, v89, -v38
	v_fmac_f32_e32 v39, v17, v89
	v_fma_f32 v38, v20, v91, -v70
	v_fmac_f32_e32 v72, v21, v91
	v_fma_f32 v43, v30, v99, -v85
	v_add_f32_e32 v30, v75, v84
	v_fmac_f32_e32 v12, 0xbf5db3d7, v37
	v_add_f32_e32 v37, v14, v46
	v_fma_f32 v20, v18, v93, -v73
	v_fmac_f32_e32 v74, v19, v93
	v_fma_f32 v40, v22, v95, -v77
	v_fmac_f32_e32 v78, v23, v95
	v_fma_f32 v1, -0.5, v45, v1
	v_fma_f32 v22, v26, v97, -v82
	v_fmac_f32_e32 v83, v27, v97
	v_fmac_f32_e32 v87, v31, v99
	v_add_f32_e32 v23, v34, v35
	v_add_f32_e32 v45, v79, v81
	v_sub_f32_e32 v46, v46, v42
	v_add_f32_e32 v21, v2, v34
	v_add_f32_e32 v27, v3, v75
	v_sub_f32_e32 v31, v34, v35
	v_add_f32_e32 v34, v8, v79
	v_fma_f32 v14, -0.5, v44, v14
	v_fmac_f32_e32 v15, -0.5, v76
	ds_write2_b64 v64, v[32:33], v[24:25] offset1:150
	ds_write_b64 v64, v[12:13] offset:2400
	v_fmac_f32_e32 v3, -0.5, v30
	v_add_f32_e32 v30, v36, v38
	v_add_f32_e32 v33, v39, v72
	v_add_f32_e32 v16, v37, v42
	v_sub_f32_e32 v37, v39, v72
	v_add_f32_e32 v32, v5, v39
	v_add_f32_e32 v39, v20, v40
	;; [unrolled: 1-line block ×4, first 2 shown]
	v_sub_f32_e32 v26, v75, v84
	v_add_f32_e32 v70, v9, v86
	v_add_f32_e32 v71, v86, v88
	v_fmamk_f32 v19, v41, 0xbf5db3d7, v1
	v_fmac_f32_e32 v1, 0x3f5db3d7, v41
	v_fma_f32 v2, -0.5, v23, v2
	v_sub_f32_e32 v41, v74, v78
	v_add_f32_e32 v42, v7, v74
	v_fma_f32 v8, -0.5, v45, v8
	v_add_f32_e32 v45, v22, v43
	v_add_f32_e32 v74, v83, v87
	;; [unrolled: 1-line block ×3, first 2 shown]
	v_fmamk_f32 v18, v47, 0x3f5db3d7, v0
	v_fmac_f32_e32 v0, 0xbf5db3d7, v47
	v_add_f32_e32 v12, v21, v35
	v_add_f32_e32 v13, v27, v84
	;; [unrolled: 1-line block ×3, first 2 shown]
	v_sub_f32_e32 v36, v36, v38
	v_add_f32_e32 v35, v6, v20
	v_sub_f32_e32 v47, v20, v40
	v_add_f32_e32 v20, v34, v81
	v_add_f32_e32 v34, v10, v22
	v_sub_f32_e32 v75, v22, v43
	v_fmamk_f32 v22, v90, 0x3f5db3d7, v14
	v_fmamk_f32 v23, v46, 0xbf5db3d7, v15
	v_fma_f32 v4, -0.5, v30, v4
	v_fma_f32 v5, -0.5, v33, v5
	v_fmac_f32_e32 v14, 0xbf5db3d7, v90
	v_fmac_f32_e32 v15, 0x3f5db3d7, v46
	v_fma_f32 v6, -0.5, v39, v6
	v_fmac_f32_e32 v7, -0.5, v44
	v_sub_f32_e32 v69, v86, v88
	v_sub_f32_e32 v73, v79, v81
	v_add_f32_e32 v21, v70, v88
	v_fma_f32 v9, -0.5, v71, v9
	v_sub_f32_e32 v70, v83, v87
	v_add_f32_e32 v71, v11, v83
	v_fmamk_f32 v24, v26, 0x3f5db3d7, v2
	v_fmamk_f32 v25, v31, 0xbf5db3d7, v3
	v_fma_f32 v10, -0.5, v45, v10
	v_fmac_f32_e32 v11, -0.5, v74
	v_fmac_f32_e32 v2, 0xbf5db3d7, v26
	v_fmac_f32_e32 v3, 0x3f5db3d7, v31
	v_add_f32_e32 v26, v27, v38
	v_add_f32_e32 v27, v32, v72
	ds_write2_b64 v101, v[16:17], v[22:23] offset1:150
	ds_write_b64 v101, v[14:15] offset:2400
	ds_write2_b64 v107, v[28:29], v[18:19] offset0:96 offset1:246
	ds_write_b64 v64, v[0:1] offset:6240
	v_fmamk_f32 v0, v37, 0x3f5db3d7, v4
	v_fmamk_f32 v1, v36, 0xbf5db3d7, v5
	v_fmac_f32_e32 v4, 0xbf5db3d7, v37
	v_fmac_f32_e32 v5, 0x3f5db3d7, v36
	v_add_f32_e32 v30, v35, v40
	v_add_f32_e32 v31, v42, v78
	v_fmamk_f32 v14, v41, 0x3f5db3d7, v6
	v_fmamk_f32 v15, v47, 0xbf5db3d7, v7
	;; [unrolled: 1-line block ×3, first 2 shown]
	v_fmac_f32_e32 v8, 0xbf5db3d7, v69
	v_fmamk_f32 v33, v73, 0xbf5db3d7, v9
	v_fmac_f32_e32 v9, 0x3f5db3d7, v73
	v_add_f32_e32 v34, v34, v43
	v_add_f32_e32 v35, v71, v87
	v_fmac_f32_e32 v6, 0xbf5db3d7, v41
	v_fmac_f32_e32 v7, 0x3f5db3d7, v47
	v_fmamk_f32 v16, v70, 0x3f5db3d7, v10
	v_fmac_f32_e32 v10, 0xbf5db3d7, v70
	v_fmamk_f32 v17, v75, 0xbf5db3d7, v11
	v_fmac_f32_e32 v11, 0x3f5db3d7, v75
	ds_write2_b64 v54, v[12:13], v[24:25] offset1:150
	ds_write_b64 v54, v[2:3] offset:2400
	ds_write2_b64 v102, v[26:27], v[0:1] offset0:4 offset1:154
	ds_write_b64 v103, v[4:5] offset:9600
	ds_write2_b64 v104, v[30:31], v[14:15] offset0:70 offset1:220
	ds_write_b64 v65, v[6:7] offset:13200
	ds_write2_b64 v67, v[20:21], v[32:33] offset1:150
	ds_write_b64 v67, v[8:9] offset:2400
	ds_write2_b64 v108, v[34:35], v[16:17] offset0:8 offset1:158
	ds_write_b64 v66, v[10:11] offset:16800
	s_and_saveexec_b32 s1, s0
	s_cbranch_execz .LBB0_29
; %bb.28:
	v_lshrrev_b16 v0, 1, v61
	v_mul_u32_u24_sdwa v0, v0, v68 dst_sel:DWORD dst_unused:UNUSED_PAD src0_sel:WORD_0 src1_sel:DWORD
	v_lshrrev_b32_e32 v0, 22, v0
	v_mul_lo_u16 v0, 0x96, v0
	v_sub_nc_u16 v0, v61, v0
	v_and_b32_e32 v4, 0xffff, v0
	v_lshlrev_b32_e32 v0, 4, v4
	v_lshl_add_u32 v8, v4, 3, 0
	global_load_dwordx4 v[0:3], v0, s[8:9] offset:1120
	v_add_nc_u32_e32 v9, 0x3800, v8
	s_waitcnt vmcnt(0)
	v_mul_f32_e32 v5, v51, v1
	v_mul_f32_e32 v6, v50, v1
	v_mul_f32_e32 v7, v48, v3
	v_mul_f32_e32 v1, v49, v3
	v_fma_f32 v3, v50, v0, -v5
	v_fmac_f32_e32 v6, v51, v0
	v_fmac_f32_e32 v7, v49, v2
	v_fma_f32 v2, v48, v2, -v1
	v_add_f32_e32 v11, v52, v3
	v_add_f32_e32 v10, v53, v6
	;; [unrolled: 1-line block ×4, first 2 shown]
	v_sub_f32_e32 v4, v3, v2
	v_sub_f32_e32 v6, v6, v7
	v_add_f32_e32 v3, v10, v7
	v_fma_f32 v1, -0.5, v0, v53
	v_fma_f32 v0, -0.5, v5, v52
	v_add_f32_e32 v2, v11, v2
	v_fmamk_f32 v5, v4, 0x3f5db3d7, v1
	v_fmac_f32_e32 v1, 0xbf5db3d7, v4
	v_fmamk_f32 v4, v6, 0xbf5db3d7, v0
	v_fmac_f32_e32 v0, 0x3f5db3d7, v6
	ds_write2_b64 v9, v[2:3], v[0:1] offset0:8 offset1:158
	ds_write_b64 v8, v[4:5] offset:16800
.LBB0_29:
	s_or_b32 exec_lo, exec_lo, s1
	v_lshlrev_b32_e32 v54, 2, v60
	s_waitcnt lgkmcnt(0)
	s_barrier
	buffer_gl0_inv
	v_add_nc_u32_e32 v15, 0x800, v64
	v_lshlrev_b64 v[0:1], 3, v[54:55]
	v_lshlrev_b32_e32 v54, 2, v59
	v_add_nc_u32_e32 v24, 0x1800, v64
	v_add_nc_u32_e32 v14, 0x2400, v64
	;; [unrolled: 1-line block ×4, first 2 shown]
	v_add_co_u32 v4, s0, s8, v0
	v_add_co_ci_u32_e64 v5, s0, s9, v1, s0
	v_lshlrev_b64 v[0:1], 3, v[54:55]
	v_add_co_u32 v2, s0, 0x800, v4
	v_add_co_ci_u32_e64 v3, s0, 0, v5, s0
	v_add_co_u32 v4, s0, 0xdc0, v4
	v_add_co_ci_u32_e64 v5, s0, 0, v5, s0
	global_load_dwordx4 v[25:28], v[2:3], off offset:1472
	v_lshlrev_b32_e32 v54, 2, v58
	v_add_nc_u32_e32 v21, 0x2800, v64
	global_load_dwordx4 v[29:32], v[4:5], off offset:16
	v_add_co_u32 v2, s0, s8, v0
	v_add_co_ci_u32_e64 v3, s0, s9, v1, s0
	v_lshlrev_b64 v[4:5], 3, v[54:55]
	v_add_co_u32 v0, s0, 0x800, v2
	v_add_co_ci_u32_e64 v1, s0, 0, v3, s0
	v_add_co_u32 v2, s0, 0xdc0, v2
	v_add_co_ci_u32_e64 v3, s0, 0, v3, s0
	s_clause 0x1
	global_load_dwordx4 v[33:36], v[0:1], off offset:1472
	global_load_dwordx4 v[37:40], v[2:3], off offset:16
	v_add_co_u32 v2, s0, s8, v4
	v_add_co_ci_u32_e64 v3, s0, s9, v5, s0
	v_lshlrev_b32_e32 v54, 2, v57
	v_add_co_u32 v0, s0, 0x800, v2
	v_add_co_ci_u32_e64 v1, s0, 0, v3, s0
	v_add_co_u32 v2, s0, 0xdc0, v2
	v_add_co_ci_u32_e64 v3, s0, 0, v3, s0
	s_clause 0x1
	global_load_dwordx4 v[41:44], v[0:1], off offset:1472
	global_load_dwordx4 v[45:48], v[2:3], off offset:16
	v_lshlrev_b64 v[0:1], 3, v[54:55]
	v_lshlrev_b32_e32 v54, 2, v56
	v_add_nc_u32_e32 v20, 0x400, v64
	v_add_nc_u32_e32 v19, 0x2000, v64
	;; [unrolled: 1-line block ×4, first 2 shown]
	v_add_co_u32 v2, s0, s8, v0
	v_add_co_ci_u32_e64 v3, s0, s9, v1, s0
	v_add_nc_u32_e32 v16, 0x3000, v64
	v_add_co_u32 v0, s0, 0x800, v2
	v_add_co_ci_u32_e64 v1, s0, 0, v3, s0
	v_add_co_u32 v2, s0, 0xdc0, v2
	v_add_co_ci_u32_e64 v3, s0, 0, v3, s0
	s_clause 0x1
	global_load_dwordx4 v[49:52], v[0:1], off offset:1472
	global_load_dwordx4 v[65:68], v[2:3], off offset:16
	v_lshlrev_b64 v[0:1], 3, v[54:55]
	v_add_co_u32 v2, s0, s8, v0
	v_add_co_ci_u32_e64 v3, s0, s9, v1, s0
	v_add_co_u32 v0, s0, 0x800, v2
	v_add_co_ci_u32_e64 v1, s0, 0, v3, s0
	v_add_co_u32 v2, s0, 0xdc0, v2
	v_add_co_ci_u32_e64 v3, s0, 0, v3, s0
	s_clause 0x1
	global_load_dwordx4 v[53:56], v[0:1], off offset:1472
	global_load_dwordx4 v[69:72], v[2:3], off offset:16
	ds_read2_b64 v[0:3], v15 offset0:104 offset1:194
	ds_read2_b64 v[73:76], v24 offset0:132 offset1:222
	;; [unrolled: 1-line block ×4, first 2 shown]
	ds_read2_b64 v[8:11], v64 offset1:90
	ds_read_b64 v[57:58], v64 offset:17280
	ds_read2_b64 v[85:88], v22 offset0:28 offset1:118
	ds_read2_b64 v[89:92], v21 offset0:160 offset1:250
	;; [unrolled: 1-line block ×7, first 2 shown]
	s_waitcnt vmcnt(0) lgkmcnt(0)
	s_barrier
	buffer_gl0_inv
	v_mul_f32_e32 v12, v26, v3
	v_mul_f32_e32 v13, v26, v2
	;; [unrolled: 1-line block ×8, first 2 shown]
	v_fma_f32 v2, v25, v2, -v12
	v_fmac_f32_e32 v13, v25, v3
	v_fma_f32 v3, v27, v73, -v26
	v_fmac_f32_e32 v28, v27, v74
	;; [unrolled: 2-line block ×4, first 2 shown]
	v_add_f32_e32 v82, v9, v13
	v_sub_f32_e32 v109, v28, v13
	v_mul_f32_e32 v12, v86, v34
	v_mul_f32_e32 v26, v85, v34
	;; [unrolled: 1-line block ×8, first 2 shown]
	v_fma_f32 v59, v85, v33, -v12
	v_fmac_f32_e32 v26, v86, v33
	v_fma_f32 v27, v75, v35, -v27
	v_fmac_f32_e32 v31, v76, v35
	;; [unrolled: 2-line block ×4, first 2 shown]
	v_mul_f32_e32 v12, v88, v42
	v_mul_f32_e32 v34, v87, v42
	;; [unrolled: 1-line block ×8, first 2 shown]
	v_sub_f32_e32 v75, v2, v3
	v_sub_f32_e32 v76, v29, v25
	v_add_f32_e32 v83, v28, v30
	v_sub_f32_e32 v73, v13, v32
	v_sub_f32_e32 v74, v28, v30
	;; [unrolled: 1-line block ×3, first 2 shown]
	v_add_f32_e32 v90, v13, v32
	v_sub_f32_e32 v110, v30, v32
	v_fma_f32 v87, v87, v41, -v12
	v_fmac_f32_e32 v34, v88, v41
	v_fma_f32 v35, v93, v43, -v35
	v_fmac_f32_e32 v38, v94, v43
	;; [unrolled: 2-line block ×4, first 2 shown]
	v_mul_f32_e32 v41, v102, v50
	v_mul_f32_e32 v88, v101, v50
	;; [unrolled: 1-line block ×7, first 2 shown]
	v_add_f32_e32 v50, v75, v76
	v_add_f32_e32 v28, v82, v28
	v_fma_f32 v13, -0.5, v83, v9
	v_add_f32_e32 v76, v10, v59
	v_sub_f32_e32 v82, v59, v27
	v_sub_f32_e32 v83, v37, v33
	v_add_f32_e32 v48, v8, v2
	v_add_f32_e32 v61, v3, v25
	;; [unrolled: 1-line block ×3, first 2 shown]
	v_sub_f32_e32 v89, v32, v30
	v_add_f32_e32 v75, v109, v110
	v_add_f32_e32 v92, v11, v26
	v_sub_f32_e32 v110, v31, v26
	v_sub_f32_e32 v111, v36, v40
	v_fma_f32 v41, v101, v49, -v41
	v_fmac_f32_e32 v88, v102, v49
	v_fma_f32 v95, v95, v51, -v43
	v_fmac_f32_e32 v91, v96, v51
	v_fma_f32 v96, v105, v65, -v44
	v_fma_f32 v51, v99, v67, -v47
	v_fmac_f32_e32 v68, v100, v67
	v_mul_f32_e32 v43, v104, v54
	v_mul_f32_e32 v67, v103, v54
	;; [unrolled: 1-line block ×7, first 2 shown]
	v_add_f32_e32 v54, v76, v27
	v_add_f32_e32 v56, v82, v83
	;; [unrolled: 1-line block ×3, first 2 shown]
	v_sub_f32_e32 v80, v3, v2
	v_sub_f32_e32 v81, v25, v29
	;; [unrolled: 1-line block ×3, first 2 shown]
	v_mul_f32_e32 v66, v105, v66
	v_add_f32_e32 v48, v48, v3
	v_fma_f32 v12, -0.5, v61, v8
	v_fma_f32 v2, -0.5, v79, v8
	v_add_f32_e32 v61, v86, v89
	v_add_f32_e32 v79, v27, v33
	;; [unrolled: 1-line block ×3, first 2 shown]
	v_sub_f32_e32 v97, v26, v31
	v_sub_f32_e32 v98, v40, v36
	v_mul_f32_e32 v70, v107, v70
	v_add_f32_e32 v76, v92, v31
	v_add_f32_e32 v82, v110, v111
	v_add_f32_e32 v101, v5, v34
	v_add_f32_e32 v102, v38, v42
	v_add_f32_e32 v110, v34, v46
	v_fma_f32 v103, v103, v53, -v43
	v_fmac_f32_e32 v99, v78, v55
	v_fma_f32 v78, v107, v69, -v47
	v_fmac_f32_e32 v72, v58, v71
	v_add_f32_e32 v43, v54, v33
	v_add_f32_e32 v47, v83, v35
	;; [unrolled: 1-line block ×3, first 2 shown]
	v_sub_f32_e32 v85, v3, v25
	v_add_f32_e32 v52, v80, v81
	v_fma_f32 v3, -0.5, v90, v9
	v_sub_f32_e32 v81, v31, v36
	v_sub_f32_e32 v89, v27, v59
	;; [unrolled: 1-line block ×3, first 2 shown]
	v_add_f32_e32 v93, v31, v36
	v_sub_f32_e32 v59, v59, v37
	v_sub_f32_e32 v94, v27, v33
	v_add_f32_e32 v109, v26, v40
	v_fmac_f32_e32 v66, v106, v65
	v_add_f32_e32 v48, v48, v25
	v_fmamk_f32 v8, v73, 0x3f737871, v12
	v_fmac_f32_e32 v12, 0xbf737871, v73
	v_fmamk_f32 v25, v74, 0xbf737871, v2
	v_fmac_f32_e32 v2, 0x3f737871, v74
	v_fma_f32 v27, -0.5, v79, v10
	v_fma_f32 v10, -0.5, v86, v10
	v_add_f32_e32 v79, v97, v98
	v_add_f32_e32 v86, v35, v39
	v_sub_f32_e32 v92, v87, v35
	v_add_f32_e32 v97, v87, v45
	v_sub_f32_e32 v98, v35, v87
	v_sub_f32_e32 v87, v87, v45
	v_sub_f32_e32 v105, v35, v39
	v_fma_f32 v77, v77, v55, -v44
	v_fmac_f32_e32 v70, v108, v69
	v_fma_f32 v69, v57, v71, -v49
	v_add_f32_e32 v44, v76, v36
	v_add_f32_e32 v49, v101, v38
	v_fma_f32 v36, -0.5, v102, v5
	v_fma_f32 v5, -0.5, v110, v5
	v_sub_f32_e32 v71, v88, v68
	v_add_f32_e32 v83, v41, v51
	v_add_f32_e32 v37, v43, v37
	;; [unrolled: 1-line block ×3, first 2 shown]
	v_fma_f32 v43, -0.5, v58, v6
	v_sub_f32_e32 v80, v26, v40
	v_add_f32_e32 v30, v28, v30
	v_fmamk_f32 v9, v84, 0xbf737871, v13
	v_fmac_f32_e32 v13, 0x3f737871, v84
	v_fmamk_f32 v26, v85, 0x3f737871, v3
	v_fmac_f32_e32 v3, 0xbf737871, v85
	v_add_f32_e32 v65, v89, v90
	v_fma_f32 v28, -0.5, v93, v11
	v_fmac_f32_e32 v11, -0.5, v109
	v_sub_f32_e32 v89, v34, v46
	v_sub_f32_e32 v90, v38, v42
	;; [unrolled: 1-line block ×8, first 2 shown]
	v_fmac_f32_e32 v8, 0x3f167918, v74
	v_fmac_f32_e32 v12, 0xbf167918, v74
	;; [unrolled: 1-line block ×4, first 2 shown]
	v_fma_f32 v35, -0.5, v86, v4
	v_fma_f32 v4, -0.5, v97, v4
	v_add_f32_e32 v57, v6, v41
	v_sub_f32_e32 v73, v91, v66
	v_sub_f32_e32 v74, v41, v95
	v_sub_f32_e32 v76, v51, v96
	v_add_f32_e32 v38, v44, v40
	v_add_f32_e32 v49, v49, v42
	v_fmamk_f32 v40, v87, 0xbf737871, v36
	v_fmac_f32_e32 v36, 0x3f737871, v87
	v_fmamk_f32 v42, v105, 0x3f737871, v5
	v_fmac_f32_e32 v5, 0xbf737871, v105
	v_fma_f32 v6, -0.5, v83, v6
	v_add_f32_e32 v45, v47, v45
	v_fmamk_f32 v47, v71, 0x3f737871, v43
	v_fmac_f32_e32 v43, 0xbf737871, v71
	v_add_f32_e32 v29, v48, v29
	v_fmac_f32_e32 v9, 0xbf167918, v85
	v_fmac_f32_e32 v13, 0x3f167918, v85
	;; [unrolled: 1-line block ×4, first 2 shown]
	v_fmamk_f32 v31, v80, 0x3f737871, v27
	v_fmac_f32_e32 v27, 0xbf737871, v80
	v_add_f32_e32 v48, v92, v93
	v_add_f32_e32 v54, v106, v109
	;; [unrolled: 1-line block ×3, first 2 shown]
	v_sub_f32_e32 v84, v95, v41
	v_sub_f32_e32 v85, v96, v51
	v_add_f32_e32 v86, v7, v88
	v_add_f32_e32 v92, v91, v66
	v_sub_f32_e32 v93, v41, v51
	v_fmac_f32_e32 v8, 0x3e9e377a, v50
	v_fmac_f32_e32 v12, 0x3e9e377a, v50
	;; [unrolled: 1-line block ×4, first 2 shown]
	v_fmamk_f32 v39, v89, 0x3f737871, v35
	v_fmac_f32_e32 v35, 0xbf737871, v89
	v_fmamk_f32 v41, v90, 0xbf737871, v4
	v_fmac_f32_e32 v4, 0x3f737871, v90
	v_add_f32_e32 v50, v57, v95
	v_add_f32_e32 v52, v74, v76
	;; [unrolled: 1-line block ×3, first 2 shown]
	v_fmac_f32_e32 v40, 0xbf167918, v105
	v_fmac_f32_e32 v36, 0x3f167918, v105
	;; [unrolled: 1-line block ×4, first 2 shown]
	v_fmamk_f32 v49, v73, 0xbf737871, v6
	v_fmac_f32_e32 v6, 0x3f737871, v73
	v_fmac_f32_e32 v47, 0x3f167918, v73
	;; [unrolled: 1-line block ×4, first 2 shown]
	v_fmamk_f32 v33, v81, 0xbf737871, v10
	v_fmac_f32_e32 v10, 0x3f737871, v81
	v_add_f32_e32 v53, v98, v100
	v_fmac_f32_e32 v31, 0x3f167918, v81
	v_fmac_f32_e32 v27, 0xbf167918, v81
	v_add_f32_e32 v57, v84, v85
	v_add_f32_e32 v58, v86, v91
	v_fma_f32 v44, -0.5, v92, v7
	v_fmac_f32_e32 v39, 0x3f167918, v90
	v_fmac_f32_e32 v35, 0xbf167918, v90
	;; [unrolled: 1-line block ×4, first 2 shown]
	v_add_f32_e32 v50, v50, v96
	v_fmac_f32_e32 v40, 0x3e9e377a, v54
	v_fmac_f32_e32 v36, 0x3e9e377a, v54
	;; [unrolled: 1-line block ×8, first 2 shown]
	v_add_f32_e32 v52, v88, v68
	v_sub_f32_e32 v54, v88, v91
	v_sub_f32_e32 v55, v68, v66
	v_fmac_f32_e32 v33, 0x3f167918, v80
	v_fmac_f32_e32 v10, 0xbf167918, v80
	;; [unrolled: 1-line block ×8, first 2 shown]
	v_add_f32_e32 v51, v50, v51
	v_fmac_f32_e32 v49, 0x3e9e377a, v57
	v_add_f32_e32 v50, v58, v66
	v_fmamk_f32 v48, v93, 0xbf737871, v44
	v_sub_f32_e32 v53, v95, v96
	v_fmac_f32_e32 v6, 0x3e9e377a, v57
	v_fmac_f32_e32 v7, -0.5, v52
	v_add_f32_e32 v54, v54, v55
	v_fmac_f32_e32 v44, 0x3f737871, v93
	v_sub_f32_e32 v55, v91, v88
	v_sub_f32_e32 v56, v66, v68
	v_add_f32_e32 v57, v77, v78
	v_fmamk_f32 v34, v94, 0x3f737871, v11
	v_fmac_f32_e32 v11, 0xbf737871, v94
	v_fmac_f32_e32 v33, 0x3e9e377a, v65
	;; [unrolled: 1-line block ×3, first 2 shown]
	v_add_f32_e32 v52, v50, v68
	v_fmac_f32_e32 v48, 0xbf167918, v53
	v_fmamk_f32 v50, v53, 0x3f737871, v7
	v_fmac_f32_e32 v44, 0x3f167918, v53
	v_add_f32_e32 v56, v55, v56
	v_fmac_f32_e32 v7, 0xbf737871, v53
	v_add_f32_e32 v55, v0, v103
	v_fma_f32 v53, -0.5, v57, v0
	v_sub_f32_e32 v58, v67, v72
	v_add_f32_e32 v65, v103, v69
	v_add_f32_e32 v30, v30, v32
	v_fmamk_f32 v32, v59, 0xbf737871, v28
	v_fmac_f32_e32 v28, 0x3f737871, v59
	v_fmac_f32_e32 v9, 0x3e9e377a, v61
	;; [unrolled: 1-line block ×7, first 2 shown]
	v_add_f32_e32 v54, v55, v77
	v_fmamk_f32 v55, v58, 0x3f737871, v53
	v_sub_f32_e32 v59, v99, v70
	v_sub_f32_e32 v57, v103, v77
	;; [unrolled: 1-line block ×3, first 2 shown]
	v_fmac_f32_e32 v53, 0xbf737871, v58
	v_fma_f32 v0, -0.5, v65, v0
	v_fmac_f32_e32 v50, 0xbf167918, v93
	v_fmac_f32_e32 v7, 0x3f167918, v93
	v_add_f32_e32 v54, v54, v78
	v_fmac_f32_e32 v55, 0x3f167918, v59
	v_add_f32_e32 v61, v57, v61
	v_fmac_f32_e32 v53, 0xbf167918, v59
	v_fmamk_f32 v65, v59, 0xbf737871, v0
	v_fmac_f32_e32 v0, 0x3f737871, v59
	v_add_f32_e32 v59, v1, v67
	v_fmac_f32_e32 v50, 0x3e9e377a, v56
	v_fmac_f32_e32 v7, 0x3e9e377a, v56
	v_add_f32_e32 v57, v54, v69
	v_fmac_f32_e32 v55, 0x3e9e377a, v61
	v_fmac_f32_e32 v53, 0x3e9e377a, v61
	v_add_f32_e32 v54, v99, v70
	v_sub_f32_e32 v56, v77, v103
	v_sub_f32_e32 v61, v78, v69
	v_fmac_f32_e32 v65, 0x3f167918, v58
	v_fmac_f32_e32 v0, 0xbf167918, v58
	v_add_f32_e32 v58, v59, v99
	v_add_f32_e32 v59, v67, v72
	v_fma_f32 v54, -0.5, v54, v1
	v_sub_f32_e32 v68, v103, v69
	v_add_f32_e32 v61, v56, v61
	v_sub_f32_e32 v69, v77, v78
	v_fmac_f32_e32 v1, -0.5, v59
	v_add_f32_e32 v58, v58, v70
	v_fmamk_f32 v56, v68, 0xbf737871, v54
	v_fmac_f32_e32 v65, 0x3e9e377a, v61
	v_fmac_f32_e32 v0, 0x3e9e377a, v61
	v_sub_f32_e32 v59, v67, v99
	v_sub_f32_e32 v61, v72, v70
	v_fmac_f32_e32 v54, 0x3f737871, v68
	v_fmamk_f32 v66, v69, 0x3f737871, v1
	v_sub_f32_e32 v67, v99, v67
	v_sub_f32_e32 v70, v70, v72
	v_fmac_f32_e32 v1, 0xbf737871, v69
	v_fmac_f32_e32 v28, 0x3f167918, v94
	;; [unrolled: 1-line block ×4, first 2 shown]
	v_add_f32_e32 v59, v59, v61
	v_fmac_f32_e32 v54, 0x3f167918, v69
	v_fmac_f32_e32 v66, 0xbf167918, v68
	v_add_f32_e32 v61, v67, v70
	v_fmac_f32_e32 v1, 0x3f167918, v68
	v_fmac_f32_e32 v26, 0x3e9e377a, v75
	;; [unrolled: 1-line block ×7, first 2 shown]
	v_add_f32_e32 v58, v58, v72
	v_fmac_f32_e32 v56, 0x3e9e377a, v59
	v_fmac_f32_e32 v54, 0x3e9e377a, v59
	;; [unrolled: 1-line block ×4, first 2 shown]
	ds_write2_b64 v64, v[29:30], v[37:38] offset1:90
	ds_write2_b64 v24, v[25:26], v[33:34] offset0:132 offset1:222
	ds_write2_b64 v23, v[12:13], v[27:28] offset0:8 offset1:98
	;; [unrolled: 1-line block ×11, first 2 shown]
	ds_write_b64 v64, v[53:54] offset:17280
	s_waitcnt lgkmcnt(0)
	s_barrier
	buffer_gl0_inv
	s_and_saveexec_b32 s0, vcc_lo
	s_cbranch_execz .LBB0_31
; %bb.30:
	v_lshl_add_u32 v22, v60, 3, 0
	v_mov_b32_e32 v61, 0
	v_add_nc_u32_e32 v4, 0x5a, v60
	v_add_co_u32 v23, vcc_lo, s2, v62
	v_add_nc_u32_e32 v6, 0x400, v22
	v_mov_b32_e32 v5, v61
	ds_read2_b64 v[0:3], v22 offset1:90
	v_lshlrev_b64 v[8:9], 3, v[60:61]
	v_add_nc_u32_e32 v12, 0xb4, v60
	v_mov_b32_e32 v13, v61
	v_lshlrev_b64 v[10:11], 3, v[4:5]
	ds_read2_b64 v[4:7], v6 offset0:52 offset1:142
	v_add_co_ci_u32_e32 v24, vcc_lo, s3, v63, vcc_lo
	v_add_co_u32 v8, vcc_lo, v23, v8
	v_lshlrev_b64 v[12:13], 3, v[12:13]
	v_add_co_ci_u32_e32 v9, vcc_lo, v24, v9, vcc_lo
	v_add_co_u32 v10, vcc_lo, v23, v10
	v_add_co_ci_u32_e32 v11, vcc_lo, v24, v11, vcc_lo
	v_add_co_u32 v12, vcc_lo, v23, v12
	v_add_nc_u32_e32 v14, 0x10e, v60
	v_mov_b32_e32 v15, v61
	v_add_co_ci_u32_e32 v13, vcc_lo, v24, v13, vcc_lo
	s_waitcnt lgkmcnt(1)
	global_store_dwordx2 v[8:9], v[0:1], off
	global_store_dwordx2 v[10:11], v[2:3], off
	s_waitcnt lgkmcnt(0)
	global_store_dwordx2 v[12:13], v[4:5], off
	v_lshlrev_b64 v[0:1], 3, v[14:15]
	v_add_nc_u32_e32 v2, 0x800, v22
	v_add_nc_u32_e32 v8, 0x1c2, v60
	v_mov_b32_e32 v9, v61
	v_add_nc_u32_e32 v10, 0x1000, v22
	v_add_nc_u32_e32 v4, 0x168, v60
	v_mov_b32_e32 v5, v61
	v_add_co_u32 v12, vcc_lo, v23, v0
	v_add_co_ci_u32_e32 v13, vcc_lo, v24, v1, vcc_lo
	ds_read2_b64 v[0:3], v2 offset0:104 offset1:194
	v_lshlrev_b64 v[14:15], 3, v[8:9]
	ds_read2_b64 v[8:11], v10 offset0:28 offset1:118
	v_lshlrev_b64 v[4:5], 3, v[4:5]
	v_add_nc_u32_e32 v16, 0x21c, v60
	v_mov_b32_e32 v17, v61
	v_add_nc_u32_e32 v18, 0x276, v60
	v_mov_b32_e32 v19, v61
	v_add_nc_u32_e32 v20, 0x5a0, v60
	v_add_co_u32 v4, vcc_lo, v23, v4
	v_lshlrev_b64 v[16:17], 3, v[16:17]
	v_add_co_ci_u32_e32 v5, vcc_lo, v24, v5, vcc_lo
	v_add_co_u32 v14, vcc_lo, v23, v14
	v_add_co_ci_u32_e32 v15, vcc_lo, v24, v15, vcc_lo
	v_add_co_u32 v16, vcc_lo, v23, v16
	v_add_co_ci_u32_e32 v17, vcc_lo, v24, v17, vcc_lo
	global_store_dwordx2 v[12:13], v[6:7], off
	s_waitcnt lgkmcnt(1)
	global_store_dwordx2 v[4:5], v[0:1], off
	global_store_dwordx2 v[14:15], v[2:3], off
	s_waitcnt lgkmcnt(0)
	global_store_dwordx2 v[16:17], v[8:9], off
	v_lshlrev_b64 v[0:1], 3, v[18:19]
	v_add_nc_u32_e32 v2, 0x1400, v22
	v_add_nc_u32_e32 v4, 0x2d0, v60
	v_mov_b32_e32 v5, v61
	v_add_nc_u32_e32 v6, 0x32a, v60
	v_mov_b32_e32 v7, v61
	v_add_nc_u32_e32 v18, 0x1800, v22
	v_add_co_u32 v8, vcc_lo, v23, v0
	v_add_co_ci_u32_e32 v9, vcc_lo, v24, v1, vcc_lo
	ds_read2_b64 v[0:3], v2 offset0:80 offset1:170
	v_lshlrev_b64 v[12:13], 3, v[4:5]
	v_lshlrev_b64 v[14:15], 3, v[6:7]
	ds_read2_b64 v[4:7], v18 offset0:132 offset1:222
	v_add_nc_u32_e32 v16, 0x384, v60
	v_mov_b32_e32 v17, v61
	v_add_nc_u32_e32 v18, 0x3de, v60
	v_add_co_u32 v12, vcc_lo, v23, v12
	v_add_co_ci_u32_e32 v13, vcc_lo, v24, v13, vcc_lo
	v_lshlrev_b64 v[16:17], 3, v[16:17]
	v_add_co_u32 v14, vcc_lo, v23, v14
	v_lshlrev_b64 v[18:19], 3, v[18:19]
	v_add_co_ci_u32_e32 v15, vcc_lo, v24, v15, vcc_lo
	v_add_co_u32 v16, vcc_lo, v23, v16
	v_add_co_ci_u32_e32 v17, vcc_lo, v24, v17, vcc_lo
	global_store_dwordx2 v[8:9], v[10:11], off
	s_waitcnt lgkmcnt(1)
	global_store_dwordx2 v[12:13], v[0:1], off
	global_store_dwordx2 v[14:15], v[2:3], off
	s_waitcnt lgkmcnt(0)
	global_store_dwordx2 v[16:17], v[4:5], off
	v_add_co_u32 v0, vcc_lo, v23, v18
	v_add_co_ci_u32_e32 v1, vcc_lo, v24, v19, vcc_lo
	v_add_nc_u32_e32 v4, 0x438, v60
	v_mov_b32_e32 v5, v61
	v_add_nc_u32_e32 v2, 0x2000, v22
	v_add_nc_u32_e32 v8, 0x492, v60
	v_mov_b32_e32 v9, v61
	global_store_dwordx2 v[0:1], v[6:7], off
	v_add_nc_u32_e32 v6, 0x2400, v22
	v_lshlrev_b64 v[10:11], 3, v[4:5]
	ds_read2_b64 v[0:3], v2 offset0:56 offset1:146
	v_add_nc_u32_e32 v12, 0x4ec, v60
	v_mov_b32_e32 v13, v61
	v_lshlrev_b64 v[8:9], 3, v[8:9]
	ds_read2_b64 v[4:7], v6 offset0:108 offset1:198
	v_add_co_u32 v14, vcc_lo, v23, v10
	v_add_co_ci_u32_e32 v15, vcc_lo, v24, v11, vcc_lo
	v_lshlrev_b64 v[10:11], 3, v[12:13]
	v_add_co_u32 v12, vcc_lo, v23, v8
	v_add_nc_u32_e32 v8, 0x2800, v22
	v_add_co_ci_u32_e32 v13, vcc_lo, v24, v9, vcc_lo
	v_add_co_u32 v18, vcc_lo, v23, v10
	v_add_nc_u32_e32 v16, 0x546, v60
	v_mov_b32_e32 v17, v61
	v_add_co_ci_u32_e32 v19, vcc_lo, v24, v11, vcc_lo
	ds_read2_b64 v[8:11], v8 offset0:160 offset1:250
	v_mov_b32_e32 v21, v61
	v_lshlrev_b64 v[16:17], 3, v[16:17]
	s_waitcnt lgkmcnt(2)
	global_store_dwordx2 v[14:15], v[0:1], off
	global_store_dwordx2 v[12:13], v[2:3], off
	s_waitcnt lgkmcnt(1)
	global_store_dwordx2 v[18:19], v[4:5], off
	v_add_nc_u32_e32 v14, 0x3000, v22
	v_add_nc_u32_e32 v4, 0x5fa, v60
	v_lshlrev_b64 v[0:1], 3, v[20:21]
	v_mov_b32_e32 v5, v61
	v_add_co_u32 v2, vcc_lo, v23, v16
	v_add_co_ci_u32_e32 v3, vcc_lo, v24, v17, vcc_lo
	v_add_co_u32 v0, vcc_lo, v23, v0
	v_add_co_ci_u32_e32 v1, vcc_lo, v24, v1, vcc_lo
	global_store_dwordx2 v[2:3], v[6:7], off
	s_waitcnt lgkmcnt(0)
	global_store_dwordx2 v[0:1], v[8:9], off
	v_add_nc_u32_e32 v12, 0x654, v60
	v_mov_b32_e32 v13, v61
	ds_read2_b64 v[0:3], v14 offset0:84 offset1:174
	v_lshlrev_b64 v[4:5], 3, v[4:5]
	v_add_nc_u32_e32 v8, 0x6ae, v60
	v_mov_b32_e32 v9, v61
	v_lshlrev_b64 v[6:7], 3, v[12:13]
	v_add_nc_u32_e32 v12, 0x708, v60
	v_add_nc_u32_e32 v14, 0x3800, v22
	v_add_co_u32 v4, vcc_lo, v23, v4
	v_lshlrev_b64 v[8:9], 3, v[8:9]
	v_add_co_ci_u32_e32 v5, vcc_lo, v24, v5, vcc_lo
	v_add_co_u32 v6, vcc_lo, v23, v6
	v_add_co_ci_u32_e32 v7, vcc_lo, v24, v7, vcc_lo
	v_add_co_u32 v8, vcc_lo, v23, v8
	v_add_co_ci_u32_e32 v9, vcc_lo, v24, v9, vcc_lo
	global_store_dwordx2 v[4:5], v[10:11], off
	s_waitcnt lgkmcnt(0)
	global_store_dwordx2 v[6:7], v[0:1], off
	global_store_dwordx2 v[8:9], v[2:3], off
	v_lshlrev_b64 v[4:5], 3, v[12:13]
	ds_read2_b64 v[0:3], v14 offset0:8 offset1:98
	v_add_nc_u32_e32 v6, 0x762, v60
	v_mov_b32_e32 v7, v61
	v_add_nc_u32_e32 v14, 0x3c00, v22
	v_add_nc_u32_e32 v8, 0x7bc, v60
	v_mov_b32_e32 v9, v61
	v_add_co_u32 v10, vcc_lo, v23, v4
	v_add_co_ci_u32_e32 v11, vcc_lo, v24, v5, vcc_lo
	v_lshlrev_b64 v[12:13], 3, v[6:7]
	ds_read2_b64 v[4:7], v14 offset0:60 offset1:150
	v_add_nc_u32_e32 v14, 0x816, v60
	v_mov_b32_e32 v15, v61
	ds_read_b64 v[16:17], v22 offset:17280
	v_lshlrev_b64 v[8:9], 3, v[8:9]
	v_add_nc_u32_e32 v60, 0x870, v60
	v_add_co_u32 v12, vcc_lo, v23, v12
	v_lshlrev_b64 v[14:15], 3, v[14:15]
	v_add_co_ci_u32_e32 v13, vcc_lo, v24, v13, vcc_lo
	v_add_co_u32 v8, vcc_lo, v23, v8
	v_lshlrev_b64 v[18:19], 3, v[60:61]
	v_add_co_ci_u32_e32 v9, vcc_lo, v24, v9, vcc_lo
	v_add_co_u32 v14, vcc_lo, v23, v14
	v_add_co_ci_u32_e32 v15, vcc_lo, v24, v15, vcc_lo
	v_add_co_u32 v18, vcc_lo, v23, v18
	v_add_co_ci_u32_e32 v19, vcc_lo, v24, v19, vcc_lo
	s_waitcnt lgkmcnt(2)
	global_store_dwordx2 v[10:11], v[0:1], off
	global_store_dwordx2 v[12:13], v[2:3], off
	s_waitcnt lgkmcnt(1)
	global_store_dwordx2 v[8:9], v[4:5], off
	global_store_dwordx2 v[14:15], v[6:7], off
	s_waitcnt lgkmcnt(0)
	global_store_dwordx2 v[18:19], v[16:17], off
.LBB0_31:
	s_endpgm
	.section	.rodata,"a",@progbits
	.p2align	6, 0x0
	.amdhsa_kernel fft_rtc_fwd_len2250_factors_10_3_5_3_5_wgs_90_tpt_90_halfLds_sp_ip_CI_unitstride_sbrr_C2R_dirReg
		.amdhsa_group_segment_fixed_size 0
		.amdhsa_private_segment_fixed_size 0
		.amdhsa_kernarg_size 88
		.amdhsa_user_sgpr_count 6
		.amdhsa_user_sgpr_private_segment_buffer 1
		.amdhsa_user_sgpr_dispatch_ptr 0
		.amdhsa_user_sgpr_queue_ptr 0
		.amdhsa_user_sgpr_kernarg_segment_ptr 1
		.amdhsa_user_sgpr_dispatch_id 0
		.amdhsa_user_sgpr_flat_scratch_init 0
		.amdhsa_user_sgpr_private_segment_size 0
		.amdhsa_wavefront_size32 1
		.amdhsa_uses_dynamic_stack 0
		.amdhsa_system_sgpr_private_segment_wavefront_offset 0
		.amdhsa_system_sgpr_workgroup_id_x 1
		.amdhsa_system_sgpr_workgroup_id_y 0
		.amdhsa_system_sgpr_workgroup_id_z 0
		.amdhsa_system_sgpr_workgroup_info 0
		.amdhsa_system_vgpr_workitem_id 0
		.amdhsa_next_free_vgpr 140
		.amdhsa_next_free_sgpr 21
		.amdhsa_reserve_vcc 1
		.amdhsa_reserve_flat_scratch 0
		.amdhsa_float_round_mode_32 0
		.amdhsa_float_round_mode_16_64 0
		.amdhsa_float_denorm_mode_32 3
		.amdhsa_float_denorm_mode_16_64 3
		.amdhsa_dx10_clamp 1
		.amdhsa_ieee_mode 1
		.amdhsa_fp16_overflow 0
		.amdhsa_workgroup_processor_mode 1
		.amdhsa_memory_ordered 1
		.amdhsa_forward_progress 0
		.amdhsa_shared_vgpr_count 0
		.amdhsa_exception_fp_ieee_invalid_op 0
		.amdhsa_exception_fp_denorm_src 0
		.amdhsa_exception_fp_ieee_div_zero 0
		.amdhsa_exception_fp_ieee_overflow 0
		.amdhsa_exception_fp_ieee_underflow 0
		.amdhsa_exception_fp_ieee_inexact 0
		.amdhsa_exception_int_div_zero 0
	.end_amdhsa_kernel
	.text
.Lfunc_end0:
	.size	fft_rtc_fwd_len2250_factors_10_3_5_3_5_wgs_90_tpt_90_halfLds_sp_ip_CI_unitstride_sbrr_C2R_dirReg, .Lfunc_end0-fft_rtc_fwd_len2250_factors_10_3_5_3_5_wgs_90_tpt_90_halfLds_sp_ip_CI_unitstride_sbrr_C2R_dirReg
                                        ; -- End function
	.section	.AMDGPU.csdata,"",@progbits
; Kernel info:
; codeLenInByte = 18052
; NumSgprs: 23
; NumVgprs: 140
; ScratchSize: 0
; MemoryBound: 0
; FloatMode: 240
; IeeeMode: 1
; LDSByteSize: 0 bytes/workgroup (compile time only)
; SGPRBlocks: 2
; VGPRBlocks: 17
; NumSGPRsForWavesPerEU: 23
; NumVGPRsForWavesPerEU: 140
; Occupancy: 7
; WaveLimiterHint : 1
; COMPUTE_PGM_RSRC2:SCRATCH_EN: 0
; COMPUTE_PGM_RSRC2:USER_SGPR: 6
; COMPUTE_PGM_RSRC2:TRAP_HANDLER: 0
; COMPUTE_PGM_RSRC2:TGID_X_EN: 1
; COMPUTE_PGM_RSRC2:TGID_Y_EN: 0
; COMPUTE_PGM_RSRC2:TGID_Z_EN: 0
; COMPUTE_PGM_RSRC2:TIDIG_COMP_CNT: 0
	.text
	.p2alignl 6, 3214868480
	.fill 48, 4, 3214868480
	.type	__hip_cuid_22f9f3bf63aaf3cd,@object ; @__hip_cuid_22f9f3bf63aaf3cd
	.section	.bss,"aw",@nobits
	.globl	__hip_cuid_22f9f3bf63aaf3cd
__hip_cuid_22f9f3bf63aaf3cd:
	.byte	0                               ; 0x0
	.size	__hip_cuid_22f9f3bf63aaf3cd, 1

	.ident	"AMD clang version 19.0.0git (https://github.com/RadeonOpenCompute/llvm-project roc-6.4.0 25133 c7fe45cf4b819c5991fe208aaa96edf142730f1d)"
	.section	".note.GNU-stack","",@progbits
	.addrsig
	.addrsig_sym __hip_cuid_22f9f3bf63aaf3cd
	.amdgpu_metadata
---
amdhsa.kernels:
  - .args:
      - .actual_access:  read_only
        .address_space:  global
        .offset:         0
        .size:           8
        .value_kind:     global_buffer
      - .offset:         8
        .size:           8
        .value_kind:     by_value
      - .actual_access:  read_only
        .address_space:  global
        .offset:         16
        .size:           8
        .value_kind:     global_buffer
      - .actual_access:  read_only
        .address_space:  global
        .offset:         24
        .size:           8
        .value_kind:     global_buffer
      - .offset:         32
        .size:           8
        .value_kind:     by_value
      - .actual_access:  read_only
        .address_space:  global
        .offset:         40
        .size:           8
        .value_kind:     global_buffer
      - .actual_access:  read_only
        .address_space:  global
        .offset:         48
        .size:           8
        .value_kind:     global_buffer
      - .offset:         56
        .size:           4
        .value_kind:     by_value
      - .actual_access:  read_only
        .address_space:  global
        .offset:         64
        .size:           8
        .value_kind:     global_buffer
      - .actual_access:  read_only
        .address_space:  global
        .offset:         72
        .size:           8
        .value_kind:     global_buffer
      - .address_space:  global
        .offset:         80
        .size:           8
        .value_kind:     global_buffer
    .group_segment_fixed_size: 0
    .kernarg_segment_align: 8
    .kernarg_segment_size: 88
    .language:       OpenCL C
    .language_version:
      - 2
      - 0
    .max_flat_workgroup_size: 90
    .name:           fft_rtc_fwd_len2250_factors_10_3_5_3_5_wgs_90_tpt_90_halfLds_sp_ip_CI_unitstride_sbrr_C2R_dirReg
    .private_segment_fixed_size: 0
    .sgpr_count:     23
    .sgpr_spill_count: 0
    .symbol:         fft_rtc_fwd_len2250_factors_10_3_5_3_5_wgs_90_tpt_90_halfLds_sp_ip_CI_unitstride_sbrr_C2R_dirReg.kd
    .uniform_work_group_size: 1
    .uses_dynamic_stack: false
    .vgpr_count:     140
    .vgpr_spill_count: 0
    .wavefront_size: 32
    .workgroup_processor_mode: 1
amdhsa.target:   amdgcn-amd-amdhsa--gfx1030
amdhsa.version:
  - 1
  - 2
...

	.end_amdgpu_metadata
